;; amdgpu-corpus repo=ROCm/rocFFT kind=compiled arch=gfx1201 opt=O3
	.text
	.amdgcn_target "amdgcn-amd-amdhsa--gfx1201"
	.amdhsa_code_object_version 6
	.protected	bluestein_single_back_len546_dim1_sp_op_CI_CI ; -- Begin function bluestein_single_back_len546_dim1_sp_op_CI_CI
	.globl	bluestein_single_back_len546_dim1_sp_op_CI_CI
	.p2align	8
	.type	bluestein_single_back_len546_dim1_sp_op_CI_CI,@function
bluestein_single_back_len546_dim1_sp_op_CI_CI: ; @bluestein_single_back_len546_dim1_sp_op_CI_CI
; %bb.0:
	s_load_b128 s[12:15], s[0:1], 0x28
	v_mul_u32_u24_e32 v1, 0x691, v0
	s_mov_b32 s2, exec_lo
	s_delay_alu instid0(VALU_DEP_1) | instskip(NEXT) | instid1(VALU_DEP_1)
	v_lshrrev_b32_e32 v1, 16, v1
	v_mad_co_u64_u32 v[94:95], null, ttmp9, 3, v[1:2]
	v_mov_b32_e32 v95, 0
                                        ; kill: def $vgpr2 killed $sgpr0 killed $exec
	s_wait_kmcnt 0x0
	s_delay_alu instid0(VALU_DEP_1)
	v_cmpx_gt_u64_e64 s[12:13], v[94:95]
	s_cbranch_execz .LBB0_23
; %bb.1:
	s_clause 0x1
	s_load_b128 s[4:7], s[0:1], 0x18
	s_load_b64 s[12:13], s[0:1], 0x0
	v_mul_lo_u16 v1, v1, 39
	s_delay_alu instid0(VALU_DEP_1) | instskip(NEXT) | instid1(VALU_DEP_1)
	v_sub_nc_u16 v34, v0, v1
	v_and_b32_e32 v128, 0xffff, v34
	s_wait_kmcnt 0x0
	s_load_b128 s[8:11], s[4:5], 0x0
	s_wait_kmcnt 0x0
	v_mad_co_u64_u32 v[0:1], null, s10, v94, 0
	v_mad_co_u64_u32 v[2:3], null, s8, v128, 0
	s_mul_u64 s[2:3], s[8:9], 42
	s_delay_alu instid0(VALU_DEP_1) | instskip(NEXT) | instid1(VALU_DEP_1)
	v_mad_co_u64_u32 v[4:5], null, s11, v94, v[1:2]
	v_mov_b32_e32 v1, v4
	s_delay_alu instid0(VALU_DEP_3) | instskip(SKIP_1) | instid1(VALU_DEP_3)
	v_mad_co_u64_u32 v[5:6], null, s9, v128, v[3:4]
	v_lshlrev_b32_e32 v74, 3, v128
	v_lshlrev_b64_e32 v[0:1], 3, v[0:1]
	s_delay_alu instid0(VALU_DEP_3)
	v_mov_b32_e32 v3, v5
	s_clause 0x3
	global_load_b64 v[105:106], v74, s[12:13]
	global_load_b64 v[107:108], v74, s[12:13] offset:336
	global_load_b64 v[103:104], v74, s[12:13] offset:672
	;; [unrolled: 1-line block ×3, first 2 shown]
	v_add_co_u32 v0, vcc_lo, s14, v0
	v_add_co_ci_u32_e32 v1, vcc_lo, s15, v1, vcc_lo
	v_lshlrev_b64_e32 v[2:3], 3, v[2:3]
	s_lshl_b64 s[14:15], s[2:3], 3
	s_clause 0x6
	global_load_b64 v[101:102], v74, s[12:13] offset:1344
	global_load_b64 v[88:89], v74, s[12:13] offset:1680
	;; [unrolled: 1-line block ×7, first 2 shown]
	v_add_co_u32 v80, s2, s12, v74
	v_add_co_u32 v0, vcc_lo, v0, v2
	s_wait_alu 0xfffd
	v_add_co_ci_u32_e32 v1, vcc_lo, v1, v3, vcc_lo
	v_add_co_ci_u32_e64 v81, null, s13, 0, s2
	s_wait_alu 0xfffe
	v_add_co_u32 v2, vcc_lo, v0, s14
	s_wait_alu 0xfffd
	v_add_co_ci_u32_e32 v3, vcc_lo, s15, v1, vcc_lo
	s_clause 0x1
	global_load_b64 v[8:9], v[0:1], off
	global_load_b64 v[10:11], v[2:3], off
	v_add_co_u32 v4, vcc_lo, v2, s14
	s_wait_alu 0xfffd
	v_add_co_ci_u32_e32 v5, vcc_lo, s15, v3, vcc_lo
	s_delay_alu instid0(VALU_DEP_2) | instskip(SKIP_1) | instid1(VALU_DEP_2)
	v_add_co_u32 v6, vcc_lo, v4, s14
	s_wait_alu 0xfffd
	v_add_co_ci_u32_e32 v7, vcc_lo, s15, v5, vcc_lo
	s_delay_alu instid0(VALU_DEP_2) | instskip(SKIP_1) | instid1(VALU_DEP_2)
	v_add_co_u32 v0, vcc_lo, v6, s14
	s_wait_alu 0xfffd
	v_add_co_ci_u32_e32 v1, vcc_lo, s15, v7, vcc_lo
	s_clause 0x1
	global_load_b64 v[4:5], v[4:5], off
	global_load_b64 v[6:7], v[6:7], off
	v_add_co_u32 v2, vcc_lo, v0, s14
	s_wait_alu 0xfffd
	v_add_co_ci_u32_e32 v3, vcc_lo, s15, v1, vcc_lo
	global_load_b64 v[12:13], v[0:1], off
	v_add_co_u32 v0, vcc_lo, v2, s14
	s_wait_alu 0xfffd
	v_add_co_ci_u32_e32 v1, vcc_lo, s15, v3, vcc_lo
	;; [unrolled: 4-line block ×8, first 2 shown]
	global_load_b64 v[95:96], v74, s[12:13] offset:3696
	global_load_b64 v[26:27], v[2:3], off
	global_load_b64 v[97:98], v74, s[12:13] offset:4032
	global_load_b64 v[28:29], v[0:1], off
	v_mul_hi_u32 v2, 0xaaaaaaab, v94
	s_load_b64 s[10:11], s[0:1], 0x38
	s_load_b128 s[4:7], s[6:7], 0x0
	v_cmp_gt_u16_e32 vcc_lo, 3, v34
	s_delay_alu instid0(VALU_DEP_2) | instskip(NEXT) | instid1(VALU_DEP_1)
	v_lshrrev_b32_e32 v2, 1, v2
	v_lshl_add_u32 v2, v2, 1, v2
	s_delay_alu instid0(VALU_DEP_1) | instskip(NEXT) | instid1(VALU_DEP_1)
	v_sub_nc_u32_e32 v2, v94, v2
	v_mul_u32_u24_e32 v2, 0x222, v2
	s_delay_alu instid0(VALU_DEP_1) | instskip(SKIP_3) | instid1(VALU_DEP_2)
	v_lshlrev_b32_e32 v129, 3, v2
	s_wait_loadcnt 0xe
	v_mul_f32_e32 v30, v9, v106
	s_wait_loadcnt 0xd
	v_dual_mul_f32 v32, v11, v108 :: v_dual_add_nc_u32 v127, v74, v129
	v_mul_f32_e32 v3, v8, v106
	s_delay_alu instid0(VALU_DEP_3) | instskip(NEXT) | instid1(VALU_DEP_3)
	v_dual_mul_f32 v33, v10, v108 :: v_dual_fmac_f32 v30, v8, v105
	v_fmac_f32_e32 v32, v10, v107
	s_delay_alu instid0(VALU_DEP_4) | instskip(NEXT) | instid1(VALU_DEP_4)
	v_add_nc_u32_e32 v2, 0x400, v127
	v_fma_f32 v31, v9, v105, -v3
	s_delay_alu instid0(VALU_DEP_4)
	v_fma_f32 v33, v11, v107, -v33
	v_add_nc_u32_e32 v3, 0x800, v127
	s_wait_loadcnt 0xc
	v_mul_f32_e32 v9, v4, v104
	v_mul_f32_e32 v8, v5, v104
	s_wait_loadcnt 0xb
	v_mul_f32_e32 v10, v7, v100
	ds_store_2addr_b64 v127, v[30:31], v[32:33] offset1:42
	v_fma_f32 v9, v5, v103, -v9
	v_dual_fmac_f32 v8, v4, v103 :: v_dual_mul_f32 v5, v6, v100
	s_wait_loadcnt 0xa
	v_mul_f32_e32 v4, v13, v102
	s_wait_loadcnt 0x9
	v_dual_mul_f32 v30, v12, v102 :: v_dual_mul_f32 v31, v14, v89
	v_fmac_f32_e32 v10, v6, v99
	v_mul_f32_e32 v6, v15, v89
	v_fma_f32 v11, v7, v99, -v5
	s_delay_alu instid0(VALU_DEP_4)
	v_fma_f32 v5, v13, v101, -v30
	v_fma_f32 v7, v15, v88, -v31
	s_wait_loadcnt 0x4
	v_dual_fmac_f32 v6, v14, v88 :: v_dual_mul_f32 v13, v24, v85
	ds_store_2addr_b64 v127, v[8:9], v[10:11] offset0:84 offset1:126
	v_mul_f32_e32 v9, v16, v91
	v_fmac_f32_e32 v4, v12, v101
	s_wait_loadcnt 0x2
	v_dual_mul_f32 v8, v17, v91 :: v_dual_mul_f32 v15, v26, v96
	v_mul_f32_e32 v10, v19, v93
	v_fma_f32 v9, v17, v90, -v9
	s_wait_loadcnt 0x0
	v_mul_f32_e32 v17, v28, v98
	ds_store_2addr_b64 v127, v[4:5], v[6:7] offset0:168 offset1:210
	v_dual_mul_f32 v5, v18, v93 :: v_dual_mul_f32 v4, v21, v83
	v_mul_f32_e32 v6, v23, v87
	v_dual_mul_f32 v7, v22, v87 :: v_dual_mul_f32 v12, v25, v85
	s_delay_alu instid0(VALU_DEP_3)
	v_fma_f32 v11, v19, v92, -v5
	v_dual_mul_f32 v5, v20, v83 :: v_dual_mul_f32 v14, v27, v96
	v_fmac_f32_e32 v8, v16, v90
	v_mul_f32_e32 v16, v29, v98
	v_fmac_f32_e32 v10, v18, v92
	v_fmac_f32_e32 v4, v20, v82
	v_fma_f32 v5, v21, v82, -v5
	v_fmac_f32_e32 v6, v22, v86
	v_fma_f32 v7, v23, v86, -v7
	;; [unrolled: 2-line block ×5, first 2 shown]
	ds_store_2addr_b64 v2, v[8:9], v[10:11] offset0:124 offset1:166
	ds_store_2addr_b64 v3, v[4:5], v[6:7] offset0:80 offset1:122
	;; [unrolled: 1-line block ×3, first 2 shown]
	ds_store_b64 v127, v[16:17] offset:4032
	s_and_saveexec_b32 s3, vcc_lo
	s_cbranch_execz .LBB0_3
; %bb.2:
	v_mad_co_u64_u32 v[0:1], null, 0xfffff178, s8, v[0:1]
	s_mul_i32 s2, s9, 0xfffff178
	s_clause 0x3
	global_load_b64 v[10:11], v[80:81], off offset:312
	global_load_b64 v[12:13], v[80:81], off offset:648
	;; [unrolled: 1-line block ×4, first 2 shown]
	s_wait_alu 0xfffe
	s_sub_co_i32 s2, s2, s8
	s_wait_alu 0xfffe
	v_add_nc_u32_e32 v1, s2, v1
	v_add_co_u32 v4, s2, v0, s14
	s_wait_alu 0xf1ff
	s_delay_alu instid0(VALU_DEP_2) | instskip(NEXT) | instid1(VALU_DEP_2)
	v_add_co_ci_u32_e64 v5, s2, s15, v1, s2
	v_add_co_u32 v6, s2, v4, s14
	global_load_b64 v[0:1], v[0:1], off
	s_wait_alu 0xf1ff
	v_add_co_ci_u32_e64 v7, s2, s15, v5, s2
	v_add_co_u32 v8, s2, v6, s14
	s_wait_alu 0xf1ff
	s_delay_alu instid0(VALU_DEP_2) | instskip(NEXT) | instid1(VALU_DEP_2)
	v_add_co_ci_u32_e64 v9, s2, s15, v7, s2
	v_add_co_u32 v18, s2, v8, s14
	s_wait_alu 0xf1ff
	s_delay_alu instid0(VALU_DEP_2) | instskip(NEXT) | instid1(VALU_DEP_2)
	v_add_co_ci_u32_e64 v19, s2, s15, v9, s2
	v_add_co_u32 v20, s2, v18, s14
	s_wait_alu 0xf1ff
	s_delay_alu instid0(VALU_DEP_2)
	v_add_co_ci_u32_e64 v21, s2, s15, v19, s2
	global_load_b64 v[4:5], v[4:5], off
	global_load_b64 v[6:7], v[6:7], off
	;; [unrolled: 1-line block ×5, first 2 shown]
	v_add_co_u32 v20, s2, v20, s14
	s_wait_alu 0xf1ff
	v_add_co_ci_u32_e64 v21, s2, s15, v21, s2
	s_clause 0x1
	global_load_b64 v[24:25], v[80:81], off offset:1656
	global_load_b64 v[26:27], v[80:81], off offset:1992
	v_add_co_u32 v28, s2, v20, s14
	s_wait_alu 0xf1ff
	v_add_co_ci_u32_e64 v29, s2, s15, v21, s2
	global_load_b64 v[20:21], v[20:21], off
	v_add_co_u32 v30, s2, v28, s14
	s_wait_alu 0xf1ff
	v_add_co_ci_u32_e64 v31, s2, s15, v29, s2
	global_load_b64 v[28:29], v[28:29], off
	v_add_co_u32 v32, s2, v30, s14
	s_wait_alu 0xf1ff
	v_add_co_ci_u32_e64 v33, s2, s15, v31, s2
	s_clause 0x1
	global_load_b64 v[34:35], v[80:81], off offset:2328
	global_load_b64 v[36:37], v[80:81], off offset:2664
	v_add_co_u32 v38, s2, v32, s14
	s_wait_alu 0xf1ff
	v_add_co_ci_u32_e64 v39, s2, s15, v33, s2
	global_load_b64 v[30:31], v[30:31], off
	global_load_b64 v[32:33], v[32:33], off
	s_clause 0x1
	global_load_b64 v[40:41], v[80:81], off offset:3000
	global_load_b64 v[42:43], v[80:81], off offset:3336
	global_load_b64 v[44:45], v[38:39], off
	v_add_co_u32 v38, s2, v38, s14
	s_wait_alu 0xf1ff
	v_add_co_ci_u32_e64 v39, s2, s15, v39, s2
	global_load_b64 v[46:47], v[80:81], off offset:3672
	v_add_co_u32 v48, s2, v38, s14
	s_wait_alu 0xf1ff
	v_add_co_ci_u32_e64 v49, s2, s15, v39, s2
	global_load_b64 v[38:39], v[38:39], off
	s_clause 0x1
	global_load_b64 v[50:51], v[80:81], off offset:4008
	global_load_b64 v[52:53], v[80:81], off offset:4344
	global_load_b64 v[48:49], v[48:49], off
	s_wait_loadcnt 0x15
	v_mul_f32_e32 v54, v1, v11
	v_mul_f32_e32 v55, v0, v11
	s_delay_alu instid0(VALU_DEP_1)
	v_fma_f32 v55, v1, v10, -v55
	s_wait_loadcnt 0x14
	v_mul_f32_e32 v11, v5, v13
	v_mul_f32_e32 v1, v4, v13
	v_fmac_f32_e32 v54, v0, v10
	s_wait_loadcnt 0x13
	v_mul_f32_e32 v0, v7, v15
	v_dual_mul_f32 v10, v6, v15 :: v_dual_fmac_f32 v11, v4, v12
	s_wait_loadcnt 0x12
	v_mul_f32_e32 v4, v9, v17
	s_delay_alu instid0(VALU_DEP_3)
	v_dual_mul_f32 v13, v8, v17 :: v_dual_fmac_f32 v0, v6, v14
	v_fma_f32 v12, v5, v12, -v1
	v_fma_f32 v1, v7, v14, -v10
	s_wait_loadcnt 0xf
	v_dual_fmac_f32 v4, v8, v16 :: v_dual_mul_f32 v7, v18, v25
	v_fma_f32 v5, v9, v16, -v13
	v_mul_f32_e32 v6, v19, v25
	ds_store_2addr_b64 v127, v[54:55], v[11:12] offset0:39 offset1:81
	s_wait_loadcnt 0xe
	v_mul_f32_e32 v8, v23, v27
	v_fma_f32 v7, v19, v24, -v7
	ds_store_2addr_b64 v127, v[0:1], v[4:5] offset0:123 offset1:165
	v_mul_f32_e32 v1, v22, v27
	s_wait_loadcnt 0xb
	v_dual_fmac_f32 v6, v18, v24 :: v_dual_mul_f32 v5, v20, v35
	s_wait_loadcnt 0xa
	v_dual_mul_f32 v11, v28, v37 :: v_dual_mul_f32 v0, v21, v35
	v_mul_f32_e32 v4, v29, v37
	s_wait_loadcnt 0x6
	v_dual_fmac_f32 v8, v22, v26 :: v_dual_mul_f32 v13, v32, v43
	v_fma_f32 v9, v23, v26, -v1
	v_fma_f32 v1, v21, v34, -v5
	v_mul_f32_e32 v10, v31, v41
	v_fma_f32 v5, v29, v36, -v11
	v_dual_mul_f32 v11, v30, v41 :: v_dual_mul_f32 v12, v33, v43
	v_fmac_f32_e32 v0, v20, v34
	s_wait_loadcnt 0x4
	v_mul_f32_e32 v14, v45, v47
	s_wait_loadcnt 0x2
	v_mul_f32_e32 v17, v38, v51
	v_mul_f32_e32 v15, v44, v47
	;; [unrolled: 1-line block ×3, first 2 shown]
	s_wait_loadcnt 0x0
	v_mul_f32_e32 v18, v49, v53
	v_mul_f32_e32 v19, v48, v53
	v_fmac_f32_e32 v4, v28, v36
	v_fmac_f32_e32 v10, v30, v40
	v_fma_f32 v11, v31, v40, -v11
	v_fmac_f32_e32 v12, v32, v42
	v_fma_f32 v13, v33, v42, -v13
	;; [unrolled: 2-line block ×5, first 2 shown]
	ds_store_2addr_b64 v127, v[6:7], v[8:9] offset0:207 offset1:249
	ds_store_2addr_b64 v3, v[0:1], v[4:5] offset0:35 offset1:77
	;; [unrolled: 1-line block ×4, first 2 shown]
	ds_store_b64 v127, v[18:19] offset:4344
.LBB0_3:
	s_wait_alu 0xfffe
	s_or_b32 exec_lo, exec_lo, s3
	global_wb scope:SCOPE_SE
	s_wait_dscnt 0x0
	s_wait_kmcnt 0x0
	s_barrier_signal -1
	s_barrier_wait -1
	global_inv scope:SCOPE_SE
	ds_load_2addr_b64 v[46:49], v127 offset1:42
	ds_load_2addr_b64 v[38:41], v127 offset0:84 offset1:126
	ds_load_2addr_b64 v[30:33], v127 offset0:168 offset1:210
	;; [unrolled: 1-line block ×5, first 2 shown]
	ds_load_b64 v[16:17], v127 offset:4032
	v_mov_b32_e32 v22, 0
	v_mov_b32_e32 v23, 0
                                        ; kill: def $vgpr0 killed $sgpr0 killed $exec
                                        ; implicit-def: $vgpr2
                                        ; implicit-def: $vgpr4
                                        ; implicit-def: $vgpr18
                                        ; implicit-def: $vgpr50
                                        ; implicit-def: $vgpr10
                                        ; implicit-def: $vgpr14
	s_and_saveexec_b32 s2, vcc_lo
	s_cbranch_execz .LBB0_5
; %bb.4:
	v_add_nc_u32_e32 v18, 0x800, v127
	ds_load_2addr_b64 v[22:25], v127 offset0:39 offset1:81
	ds_load_2addr_b64 v[12:15], v127 offset0:123 offset1:165
	ds_load_2addr_b64 v[8:11], v127 offset0:207 offset1:249
	ds_load_2addr_b64 v[0:3], v18 offset0:35 offset1:77
	ds_load_2addr_b64 v[4:7], v18 offset0:119 offset1:161
	ds_load_2addr_b64 v[18:21], v18 offset0:203 offset1:245
	ds_load_b64 v[50:51], v127 offset:4344
.LBB0_5:
	s_wait_alu 0xfffe
	s_or_b32 exec_lo, exec_lo, s2
	s_wait_dscnt 0x6
	v_dual_add_f32 v52, v46, v48 :: v_dual_add_f32 v53, v47, v49
	s_load_b64 s[2:3], s[0:1], 0x8
	v_add_co_u32 v75, s0, v128, 39
	s_wait_dscnt 0x5
	s_delay_alu instid0(VALU_DEP_2)
	v_dual_add_f32 v52, v52, v38 :: v_dual_add_f32 v53, v53, v39
	s_wait_alu 0xf1ff
	v_add_co_ci_u32_e64 v54, null, 0, 0, s0
	s_wait_dscnt 0x0
	v_dual_add_f32 v54, v16, v48 :: v_dual_sub_f32 v55, v49, v17
	v_dual_add_f32 v52, v52, v40 :: v_dual_add_f32 v53, v53, v41
	v_sub_f32_e32 v48, v48, v16
	v_mul_u32_u24_e32 v132, 13, v75
	s_delay_alu instid0(VALU_DEP_3) | instskip(NEXT) | instid1(VALU_DEP_4)
	v_dual_add_f32 v49, v17, v49 :: v_dual_add_f32 v52, v52, v30
	v_add_f32_e32 v53, v53, v31
	s_delay_alu instid0(VALU_DEP_4) | instskip(SKIP_1) | instid1(VALU_DEP_3)
	v_dual_mul_f32 v56, 0xbeedf032, v55 :: v_dual_mul_f32 v57, 0xbeedf032, v48
	v_dual_mul_f32 v58, 0xbf52af12, v55 :: v_dual_mul_f32 v59, 0xbf52af12, v48
	v_dual_add_f32 v52, v52, v32 :: v_dual_add_f32 v53, v53, v33
	s_delay_alu instid0(VALU_DEP_3) | instskip(NEXT) | instid1(VALU_DEP_3)
	v_fma_f32 v62, 0x3f62ad3f, v54, -v56
	v_fma_f32 v64, 0x3f116cb1, v54, -v58
	v_dual_mul_f32 v60, 0xbf7e222b, v55 :: v_dual_mul_f32 v61, 0xbf7e222b, v48
	s_delay_alu instid0(VALU_DEP_4) | instskip(SKIP_2) | instid1(VALU_DEP_3)
	v_dual_add_f32 v52, v52, v26 :: v_dual_add_f32 v53, v53, v27
	v_dual_fmamk_f32 v63, v49, 0x3f62ad3f, v57 :: v_dual_fmac_f32 v56, 0x3f62ad3f, v54
	v_fma_f32 v57, 0x3f62ad3f, v49, -v57
	v_dual_add_f32 v52, v52, v28 :: v_dual_add_f32 v53, v53, v29
	v_dual_fmamk_f32 v65, v49, 0x3f116cb1, v59 :: v_dual_fmac_f32 v58, 0x3f116cb1, v54
	v_fma_f32 v66, 0x3df6dbef, v54, -v60
	s_delay_alu instid0(VALU_DEP_3) | instskip(SKIP_2) | instid1(VALU_DEP_3)
	v_dual_add_f32 v52, v52, v34 :: v_dual_add_f32 v53, v53, v35
	v_dual_add_f32 v67, v46, v56 :: v_dual_add_f32 v68, v47, v57
	v_mul_f32_e32 v71, 0xbf29c268, v48
	v_dual_add_f32 v52, v52, v36 :: v_dual_add_f32 v53, v53, v37
	v_fma_f32 v59, 0x3f116cb1, v49, -v59
	v_dual_add_f32 v62, v46, v62 :: v_dual_add_f32 v63, v47, v63
	s_delay_alu instid0(VALU_DEP_3) | instskip(SKIP_1) | instid1(VALU_DEP_4)
	v_dual_add_f32 v52, v52, v42 :: v_dual_add_f32 v53, v53, v43
	v_dual_add_f32 v64, v46, v64 :: v_dual_add_f32 v65, v47, v65
	;; [unrolled: 1-line block ×3, first 2 shown]
	s_delay_alu instid0(VALU_DEP_3)
	v_dual_add_f32 v52, v52, v44 :: v_dual_add_f32 v53, v53, v45
	global_wb scope:SCOPE_SE
	s_wait_kmcnt 0x0
	s_barrier_signal -1
	s_barrier_wait -1
	v_dual_add_f32 v56, v52, v16 :: v_dual_add_f32 v57, v53, v17
	v_fma_f32 v53, 0x3df6dbef, v49, -v61
	v_fmac_f32_e32 v60, 0x3df6dbef, v54
	v_mul_f32_e32 v69, 0xbf29c268, v55
	v_dual_fmamk_f32 v17, v49, 0x3df6dbef, v61 :: v_dual_add_f32 v52, v46, v66
	s_delay_alu instid0(VALU_DEP_3) | instskip(NEXT) | instid1(VALU_DEP_2)
	v_dual_add_f32 v53, v47, v53 :: v_dual_add_f32 v60, v46, v60
	v_dual_mul_f32 v16, 0xbf6f5d39, v55 :: v_dual_add_f32 v17, v47, v17
	s_delay_alu instid0(VALU_DEP_4) | instskip(SKIP_2) | instid1(VALU_DEP_4)
	v_fma_f32 v72, 0xbf3f9e67, v54, -v69
	v_fmac_f32_e32 v69, 0xbf3f9e67, v54
	v_sub_f32_e32 v77, v39, v45
	v_fma_f32 v61, 0xbeb58ec6, v54, -v16
	v_mul_f32_e32 v66, 0xbf6f5d39, v48
	s_delay_alu instid0(VALU_DEP_4) | instskip(SKIP_1) | instid1(VALU_DEP_4)
	v_dual_fmac_f32 v16, 0xbeb58ec6, v54 :: v_dual_add_f32 v69, v46, v69
	v_add_f32_e32 v72, v46, v72
	v_add_f32_e32 v61, v46, v61
	v_fmamk_f32 v73, v49, 0xbf3f9e67, v71
	v_fmamk_f32 v70, v49, 0xbeb58ec6, v66
	v_fma_f32 v66, 0xbeb58ec6, v49, -v66
	v_dual_add_f32 v16, v46, v16 :: v_dual_mul_f32 v55, 0xbe750f2a, v55
	s_delay_alu instid0(VALU_DEP_4) | instskip(NEXT) | instid1(VALU_DEP_4)
	v_add_f32_e32 v73, v47, v73
	v_add_f32_e32 v70, v47, v70
	s_delay_alu instid0(VALU_DEP_4) | instskip(SKIP_4) | instid1(VALU_DEP_4)
	v_add_f32_e32 v66, v47, v66
	v_mul_f32_e32 v48, 0xbe750f2a, v48
	v_fma_f32 v71, 0xbf3f9e67, v49, -v71
	v_fma_f32 v76, 0xbf788fa5, v54, -v55
	v_dual_add_f32 v79, v44, v38 :: v_dual_sub_f32 v38, v38, v44
	v_dual_fmac_f32 v55, 0xbf788fa5, v54 :: v_dual_fmamk_f32 v78, v49, 0xbf788fa5, v48
	s_delay_alu instid0(VALU_DEP_3) | instskip(SKIP_2) | instid1(VALU_DEP_4)
	v_dual_add_f32 v71, v47, v71 :: v_dual_add_f32 v76, v46, v76
	v_mul_f32_e32 v109, 0xbf52af12, v77
	v_fma_f32 v44, 0xbf788fa5, v49, -v48
	v_dual_add_f32 v78, v47, v78 :: v_dual_add_f32 v39, v45, v39
	v_dual_mul_f32 v45, 0xbf52af12, v38 :: v_dual_add_f32 v46, v46, v55
	s_delay_alu instid0(VALU_DEP_4) | instskip(NEXT) | instid1(VALU_DEP_4)
	v_fma_f32 v48, 0x3f116cb1, v79, -v109
	v_add_f32_e32 v44, v47, v44
	global_inv scope:SCOPE_SE
	v_dual_add_f32 v47, v48, v62 :: v_dual_mul_f32 v48, 0xbf6f5d39, v77
	s_delay_alu instid0(VALU_DEP_1) | instskip(SKIP_2) | instid1(VALU_DEP_2)
	v_fma_f32 v55, 0xbeb58ec6, v79, -v48
	v_fmac_f32_e32 v48, 0xbeb58ec6, v79
	v_fmac_f32_e32 v109, 0x3f116cb1, v79
	v_dual_add_f32 v55, v55, v64 :: v_dual_add_f32 v48, v48, v58
	s_delay_alu instid0(VALU_DEP_2) | instskip(SKIP_2) | instid1(VALU_DEP_3)
	v_dual_fmamk_f32 v49, v39, 0x3f116cb1, v45 :: v_dual_add_f32 v62, v109, v67
	v_fma_f32 v45, 0x3f116cb1, v39, -v45
	v_mul_f32_e32 v54, 0xbf6f5d39, v38
	v_dual_mul_f32 v64, 0xbe750f2a, v77 :: v_dual_add_f32 v49, v49, v63
	s_delay_alu instid0(VALU_DEP_3) | instskip(NEXT) | instid1(VALU_DEP_3)
	v_dual_mul_f32 v58, 0x3f29c268, v77 :: v_dual_add_f32 v45, v45, v68
	v_fmamk_f32 v63, v39, 0xbeb58ec6, v54
	v_fma_f32 v54, 0xbeb58ec6, v39, -v54
	s_delay_alu instid0(VALU_DEP_4) | instskip(SKIP_1) | instid1(VALU_DEP_3)
	v_fma_f32 v67, 0xbf788fa5, v79, -v64
	v_fmac_f32_e32 v64, 0xbf788fa5, v79
	v_dual_add_f32 v54, v54, v59 :: v_dual_add_f32 v63, v63, v65
	s_delay_alu instid0(VALU_DEP_3) | instskip(NEXT) | instid1(VALU_DEP_3)
	v_dual_mul_f32 v65, 0xbe750f2a, v38 :: v_dual_add_f32 v52, v67, v52
	v_add_f32_e32 v60, v64, v60
	v_mul_f32_e32 v64, 0x3f7e222b, v77
	s_delay_alu instid0(VALU_DEP_3) | instskip(SKIP_1) | instid1(VALU_DEP_3)
	v_fmamk_f32 v59, v39, 0xbf788fa5, v65
	v_fma_f32 v65, 0xbf788fa5, v39, -v65
	v_fma_f32 v68, 0x3df6dbef, v79, -v64
	s_delay_alu instid0(VALU_DEP_3) | instskip(SKIP_3) | instid1(VALU_DEP_2)
	v_add_f32_e32 v17, v59, v17
	v_mul_f32_e32 v59, 0x3f29c268, v38
	v_fma_f32 v67, 0xbf3f9e67, v79, -v58
	v_dual_fmac_f32 v58, 0xbf3f9e67, v79 :: v_dual_add_f32 v53, v65, v53
	v_add_f32_e32 v61, v67, v61
	s_delay_alu instid0(VALU_DEP_2) | instskip(SKIP_1) | instid1(VALU_DEP_2)
	v_dual_mul_f32 v67, 0x3f7e222b, v38 :: v_dual_add_f32 v16, v58, v16
	v_fmac_f32_e32 v64, 0x3df6dbef, v79
	v_fmamk_f32 v58, v39, 0x3df6dbef, v67
	v_fma_f32 v67, 0x3df6dbef, v39, -v67
	s_delay_alu instid0(VALU_DEP_1) | instskip(NEXT) | instid1(VALU_DEP_4)
	v_dual_mul_f32 v38, 0x3eedf032, v38 :: v_dual_add_f32 v67, v67, v71
	v_dual_add_f32 v71, v42, v40 :: v_dual_add_f32 v64, v64, v69
	v_sub_f32_e32 v69, v41, v43
	v_dual_fmamk_f32 v65, v39, 0xbf3f9e67, v59 :: v_dual_add_f32 v58, v58, v73
	v_fma_f32 v59, 0xbf3f9e67, v39, -v59
	v_dual_sub_f32 v40, v40, v42 :: v_dual_add_f32 v41, v43, v41
	s_delay_alu instid0(VALU_DEP_3) | instskip(NEXT) | instid1(VALU_DEP_3)
	v_add_f32_e32 v65, v65, v70
	v_dual_add_f32 v59, v59, v66 :: v_dual_add_f32 v66, v68, v72
	v_mul_f32_e32 v68, 0x3eedf032, v77
	s_delay_alu instid0(VALU_DEP_1) | instskip(SKIP_4) | instid1(VALU_DEP_4)
	v_fma_f32 v70, 0x3f62ad3f, v79, -v68
	v_fmac_f32_e32 v68, 0x3f62ad3f, v79
	v_fmamk_f32 v72, v39, 0x3f62ad3f, v38
	v_fma_f32 v38, 0x3f62ad3f, v39, -v38
	v_add_f32_e32 v79, v20, v12
	v_dual_add_f32 v70, v70, v76 :: v_dual_add_f32 v43, v68, v46
	s_delay_alu instid0(VALU_DEP_4) | instskip(NEXT) | instid1(VALU_DEP_4)
	v_dual_mul_f32 v73, 0xbf7e222b, v69 :: v_dual_add_f32 v72, v72, v78
	v_add_f32_e32 v38, v38, v44
	v_mul_f32_e32 v44, 0xbe750f2a, v69
	s_delay_alu instid0(VALU_DEP_3) | instskip(SKIP_1) | instid1(VALU_DEP_2)
	v_fma_f32 v39, 0x3df6dbef, v71, -v73
	v_fmac_f32_e32 v73, 0x3df6dbef, v71
	v_add_f32_e32 v39, v39, v47
	v_mul_f32_e32 v47, 0xbe750f2a, v40
	v_fma_f32 v68, 0xbf788fa5, v71, -v44
	s_delay_alu instid0(VALU_DEP_1) | instskip(NEXT) | instid1(VALU_DEP_1)
	v_dual_mul_f32 v42, 0xbf7e222b, v40 :: v_dual_add_f32 v55, v68, v55
	v_fmamk_f32 v46, v41, 0x3df6dbef, v42
	v_fma_f32 v42, 0x3df6dbef, v41, -v42
	s_delay_alu instid0(VALU_DEP_1) | instskip(SKIP_1) | instid1(VALU_DEP_2)
	v_dual_add_f32 v42, v42, v45 :: v_dual_fmamk_f32 v45, v41, 0xbf788fa5, v47
	v_fma_f32 v47, 0xbf788fa5, v41, -v47
	v_add_f32_e32 v45, v45, v63
	v_mul_f32_e32 v63, 0x3f6f5d39, v40
	s_delay_alu instid0(VALU_DEP_3) | instskip(SKIP_1) | instid1(VALU_DEP_3)
	v_dual_add_f32 v47, v47, v54 :: v_dual_add_f32 v46, v46, v49
	v_dual_add_f32 v49, v73, v62 :: v_dual_mul_f32 v62, 0x3f6f5d39, v69
	v_fmamk_f32 v54, v41, 0xbeb58ec6, v63
	v_fmac_f32_e32 v44, 0xbf788fa5, v71
	v_fma_f32 v63, 0xbeb58ec6, v41, -v63
	s_delay_alu instid0(VALU_DEP_4) | instskip(NEXT) | instid1(VALU_DEP_4)
	v_fma_f32 v68, 0xbeb58ec6, v71, -v62
	v_dual_add_f32 v17, v54, v17 :: v_dual_mul_f32 v54, 0x3eedf032, v40
	s_delay_alu instid0(VALU_DEP_3) | instskip(NEXT) | instid1(VALU_DEP_2)
	v_dual_add_f32 v44, v44, v48 :: v_dual_add_f32 v53, v63, v53
	v_dual_add_f32 v52, v68, v52 :: v_dual_fmamk_f32 v63, v41, 0x3f62ad3f, v54
	v_fmac_f32_e32 v62, 0xbeb58ec6, v71
	v_fma_f32 v54, 0x3f62ad3f, v41, -v54
	s_delay_alu instid0(VALU_DEP_2) | instskip(SKIP_2) | instid1(VALU_DEP_1)
	v_dual_add_f32 v63, v63, v65 :: v_dual_add_f32 v60, v62, v60
	v_mul_f32_e32 v65, 0xbf29c268, v69
	v_mul_f32_e32 v62, 0xbf52af12, v69
	v_fma_f32 v73, 0x3f116cb1, v71, -v62
	v_mul_f32_e32 v48, 0x3eedf032, v69
	v_fmac_f32_e32 v62, 0x3f116cb1, v71
	s_delay_alu instid0(VALU_DEP_1)
	v_add_f32_e32 v62, v62, v64
	v_sub_f32_e32 v64, v31, v37
	v_dual_add_f32 v54, v54, v59 :: v_dual_add_f32 v59, v73, v66
	v_fma_f32 v68, 0x3f62ad3f, v71, -v48
	v_fmac_f32_e32 v48, 0x3f62ad3f, v71
	v_fma_f32 v66, 0xbf3f9e67, v71, -v65
	v_fmac_f32_e32 v65, 0xbf3f9e67, v71
	v_mul_f32_e32 v69, 0xbf6f5d39, v64
	v_dual_add_f32 v61, v68, v61 :: v_dual_mul_f32 v68, 0xbf52af12, v40
	v_add_f32_e32 v16, v48, v16
	v_dual_mul_f32 v40, 0xbf29c268, v40 :: v_dual_add_f32 v31, v37, v31
	v_add_f32_e32 v71, v29, v27
	s_delay_alu instid0(VALU_DEP_4) | instskip(NEXT) | instid1(VALU_DEP_1)
	v_fmamk_f32 v48, v41, 0x3f116cb1, v68
	v_add_f32_e32 v48, v48, v58
	v_fma_f32 v58, 0x3f116cb1, v41, -v68
	s_delay_alu instid0(VALU_DEP_1)
	v_dual_add_f32 v58, v58, v67 :: v_dual_add_f32 v67, v36, v30
	v_sub_f32_e32 v30, v30, v36
	v_fmamk_f32 v68, v41, 0xbf3f9e67, v40
	v_fma_f32 v36, 0xbf3f9e67, v41, -v40
	v_add_f32_e32 v41, v65, v43
	v_fma_f32 v40, 0xbeb58ec6, v67, -v69
	v_mul_f32_e32 v37, 0xbf6f5d39, v30
	v_mul_f32_e32 v43, 0x3f29c268, v30
	v_dual_add_f32 v36, v36, v38 :: v_dual_fmac_f32 v69, 0xbeb58ec6, v67
	s_delay_alu instid0(VALU_DEP_4) | instskip(NEXT) | instid1(VALU_DEP_4)
	v_add_f32_e32 v38, v40, v39
	v_fmamk_f32 v40, v31, 0xbeb58ec6, v37
	v_fma_f32 v37, 0xbeb58ec6, v31, -v37
	v_dual_mul_f32 v39, 0x3f29c268, v64 :: v_dual_add_f32 v66, v66, v70
	s_delay_alu instid0(VALU_DEP_2) | instskip(SKIP_2) | instid1(VALU_DEP_4)
	v_dual_sub_f32 v70, v26, v28 :: v_dual_add_f32 v37, v37, v42
	v_fmamk_f32 v42, v31, 0xbf3f9e67, v43
	v_fma_f32 v43, 0xbf3f9e67, v31, -v43
	v_fma_f32 v65, 0xbf3f9e67, v67, -v39
	s_delay_alu instid0(VALU_DEP_3) | instskip(NEXT) | instid1(VALU_DEP_3)
	v_dual_fmac_f32 v39, 0xbf3f9e67, v67 :: v_dual_add_f32 v42, v42, v45
	v_dual_add_f32 v43, v43, v47 :: v_dual_add_f32 v68, v68, v72
	v_mul_f32_e32 v45, 0x3eedf032, v30
	s_delay_alu instid0(VALU_DEP_3) | instskip(SKIP_1) | instid1(VALU_DEP_3)
	v_add_f32_e32 v39, v39, v44
	v_mul_f32_e32 v44, 0xbf7e222b, v64
	v_fmamk_f32 v47, v31, 0x3f62ad3f, v45
	v_fma_f32 v45, 0x3f62ad3f, v31, -v45
	s_delay_alu instid0(VALU_DEP_2) | instskip(NEXT) | instid1(VALU_DEP_2)
	v_add_f32_e32 v17, v47, v17
	v_dual_add_f32 v45, v45, v53 :: v_dual_add_f32 v40, v40, v46
	v_add_f32_e32 v46, v69, v49
	v_add_f32_e32 v49, v65, v55
	v_mul_f32_e32 v55, 0x3eedf032, v64
	v_mul_f32_e32 v47, 0xbf7e222b, v30
	s_delay_alu instid0(VALU_DEP_2) | instskip(NEXT) | instid1(VALU_DEP_1)
	v_fma_f32 v65, 0x3f62ad3f, v67, -v55
	v_dual_fmac_f32 v55, 0x3f62ad3f, v67 :: v_dual_add_f32 v52, v65, v52
	v_fma_f32 v65, 0x3df6dbef, v67, -v44
	s_delay_alu instid0(VALU_DEP_2) | instskip(NEXT) | instid1(VALU_DEP_2)
	v_add_f32_e32 v55, v55, v60
	v_add_f32_e32 v53, v65, v61
	v_mul_f32_e32 v65, 0x3e750f2a, v30
	v_fmamk_f32 v61, v31, 0x3df6dbef, v47
	v_fma_f32 v47, 0x3df6dbef, v31, -v47
	s_delay_alu instid0(VALU_DEP_2) | instskip(NEXT) | instid1(VALU_DEP_2)
	v_dual_mul_f32 v60, 0x3e750f2a, v64 :: v_dual_add_f32 v61, v61, v63
	v_dual_add_f32 v47, v47, v54 :: v_dual_fmac_f32 v44, 0x3df6dbef, v67
	s_delay_alu instid0(VALU_DEP_2) | instskip(SKIP_1) | instid1(VALU_DEP_2)
	v_fma_f32 v69, 0xbf788fa5, v67, -v60
	v_fmac_f32_e32 v60, 0xbf788fa5, v67
	v_dual_add_f32 v54, v69, v59 :: v_dual_mul_f32 v59, 0x3f52af12, v64
	s_delay_alu instid0(VALU_DEP_2)
	v_add_f32_e32 v60, v60, v62
	v_sub_f32_e32 v62, v33, v35
	v_add_f32_e32 v16, v44, v16
	v_fmamk_f32 v44, v31, 0xbf788fa5, v65
	v_fma_f32 v63, 0x3f116cb1, v67, -v59
	v_fmac_f32_e32 v59, 0x3f116cb1, v67
	v_dual_mul_f32 v30, 0x3f52af12, v30 :: v_dual_add_f32 v33, v35, v33
	s_delay_alu instid0(VALU_DEP_4)
	v_add_f32_e32 v44, v44, v48
	v_fma_f32 v48, 0xbf788fa5, v31, -v65
	v_mul_f32_e32 v65, 0xbf29c268, v62
	v_add_f32_e32 v35, v59, v41
	v_fmamk_f32 v64, v31, 0x3f116cb1, v30
	v_fma_f32 v30, 0x3f116cb1, v31, -v30
	v_add_f32_e32 v48, v48, v58
	v_dual_add_f32 v58, v63, v66 :: v_dual_add_f32 v63, v34, v32
	v_sub_f32_e32 v32, v32, v34
	v_dual_sub_f32 v66, v27, v29 :: v_dual_add_f32 v69, v28, v26
	s_delay_alu instid0(VALU_DEP_3) | instskip(NEXT) | instid1(VALU_DEP_3)
	v_fma_f32 v31, 0xbf3f9e67, v63, -v65
	v_mul_f32_e32 v34, 0xbf29c268, v32
	v_mul_f32_e32 v41, 0x3f7e222b, v32
	v_fmac_f32_e32 v65, 0xbf3f9e67, v63
	s_delay_alu instid0(VALU_DEP_3) | instskip(SKIP_3) | instid1(VALU_DEP_4)
	v_dual_add_f32 v31, v31, v38 :: v_dual_fmamk_f32 v38, v33, 0xbf3f9e67, v34
	v_fma_f32 v34, 0xbf3f9e67, v33, -v34
	v_add_f32_e32 v30, v30, v36
	v_mul_f32_e32 v36, 0x3f7e222b, v62
	v_add_f32_e32 v38, v38, v40
	s_delay_alu instid0(VALU_DEP_4) | instskip(NEXT) | instid1(VALU_DEP_3)
	v_dual_add_f32 v34, v34, v37 :: v_dual_fmamk_f32 v37, v33, 0x3df6dbef, v41
	v_fma_f32 v59, 0x3df6dbef, v63, -v36
	v_fmac_f32_e32 v36, 0x3df6dbef, v63
	v_fma_f32 v41, 0x3df6dbef, v33, -v41
	s_delay_alu instid0(VALU_DEP_4) | instskip(NEXT) | instid1(VALU_DEP_3)
	v_dual_add_f32 v37, v37, v42 :: v_dual_mul_f32 v42, 0xbf52af12, v32
	v_add_f32_e32 v36, v36, v39
	s_delay_alu instid0(VALU_DEP_3) | instskip(SKIP_1) | instid1(VALU_DEP_4)
	v_dual_add_f32 v39, v41, v43 :: v_dual_add_f32 v64, v64, v68
	v_mul_f32_e32 v41, 0x3e750f2a, v62
	v_fmamk_f32 v43, v33, 0x3f116cb1, v42
	s_delay_alu instid0(VALU_DEP_1) | instskip(SKIP_2) | instid1(VALU_DEP_1)
	v_dual_add_f32 v40, v65, v46 :: v_dual_add_f32 v43, v43, v17
	v_dual_mul_f32 v17, 0x3e750f2a, v32 :: v_dual_add_f32 v46, v59, v49
	v_mul_f32_e32 v49, 0xbf52af12, v62
	v_fma_f32 v59, 0x3f116cb1, v63, -v49
	s_delay_alu instid0(VALU_DEP_1) | instskip(NEXT) | instid1(VALU_DEP_1)
	v_dual_fmac_f32 v49, 0x3f116cb1, v63 :: v_dual_add_f32 v52, v59, v52
	v_add_f32_e32 v49, v49, v55
	v_fmamk_f32 v55, v33, 0xbf788fa5, v17
	v_fma_f32 v17, 0xbf788fa5, v33, -v17
	v_fma_f32 v59, 0xbf788fa5, v63, -v41
	v_fmac_f32_e32 v41, 0xbf788fa5, v63
	s_delay_alu instid0(VALU_DEP_4) | instskip(NEXT) | instid1(VALU_DEP_4)
	v_add_f32_e32 v55, v55, v61
	v_add_f32_e32 v47, v17, v47
	v_fma_f32 v42, 0x3f116cb1, v33, -v42
	s_delay_alu instid0(VALU_DEP_4) | instskip(NEXT) | instid1(VALU_DEP_2)
	v_add_f32_e32 v41, v41, v16
	v_dual_mul_f32 v17, 0xbf6f5d39, v62 :: v_dual_add_f32 v42, v42, v45
	v_add_f32_e32 v45, v59, v53
	v_mul_f32_e32 v53, 0x3eedf032, v62
	v_mul_f32_e32 v59, 0x3eedf032, v32
	;; [unrolled: 1-line block ×3, first 2 shown]
	s_delay_alu instid0(VALU_DEP_3) | instskip(NEXT) | instid1(VALU_DEP_3)
	v_fma_f32 v65, 0x3f62ad3f, v63, -v53
	v_fmamk_f32 v16, v33, 0x3f62ad3f, v59
	v_fmac_f32_e32 v53, 0x3f62ad3f, v63
	s_delay_alu instid0(VALU_DEP_4)
	v_fmamk_f32 v61, v33, 0xbeb58ec6, v32
	v_fma_f32 v26, 0xbeb58ec6, v33, -v32
	v_add_f32_e32 v54, v65, v54
	v_add_f32_e32 v44, v16, v44
	v_fma_f32 v16, 0x3f62ad3f, v33, -v59
	v_add_f32_e32 v53, v53, v60
	v_fma_f32 v59, 0xbeb58ec6, v63, -v17
	v_dual_add_f32 v68, v61, v64 :: v_dual_fmac_f32 v17, 0xbeb58ec6, v63
	s_delay_alu instid0(VALU_DEP_4) | instskip(SKIP_2) | instid1(VALU_DEP_4)
	v_add_f32_e32 v48, v16, v48
	v_mul_f32_e32 v16, 0xbe750f2a, v66
	v_mul_f32_e32 v29, 0xbe750f2a, v70
	v_dual_add_f32 v67, v59, v58 :: v_dual_add_f32 v72, v17, v35
	s_delay_alu instid0(VALU_DEP_3) | instskip(NEXT) | instid1(VALU_DEP_3)
	v_fma_f32 v27, 0xbf788fa5, v69, -v16
	v_fmamk_f32 v17, v71, 0xbf788fa5, v29
	v_dual_add_f32 v73, v26, v30 :: v_dual_fmac_f32 v16, 0xbf788fa5, v69
	s_delay_alu instid0(VALU_DEP_3) | instskip(SKIP_1) | instid1(VALU_DEP_4)
	v_dual_mul_f32 v35, 0xbf29c268, v70 :: v_dual_add_f32 v28, v27, v31
	v_fma_f32 v27, 0xbf788fa5, v71, -v29
	v_add_f32_e32 v29, v17, v38
	s_delay_alu instid0(VALU_DEP_4) | instskip(NEXT) | instid1(VALU_DEP_3)
	v_dual_mul_f32 v31, 0x3eedf032, v70 :: v_dual_add_f32 v16, v16, v40
	v_dual_add_f32 v40, v25, v23 :: v_dual_add_f32 v17, v27, v34
	v_mul_f32_e32 v38, 0x3f52af12, v70
	s_delay_alu instid0(VALU_DEP_3) | instskip(SKIP_2) | instid1(VALU_DEP_3)
	v_fmamk_f32 v27, v71, 0x3f62ad3f, v31
	v_mul_f32_e32 v26, 0x3eedf032, v66
	v_fma_f32 v31, 0x3f62ad3f, v71, -v31
	v_add_f32_e32 v33, v27, v37
	s_delay_alu instid0(VALU_DEP_3) | instskip(NEXT) | instid1(VALU_DEP_3)
	v_fma_f32 v30, 0x3f62ad3f, v69, -v26
	v_dual_fmac_f32 v26, 0x3f62ad3f, v69 :: v_dual_add_f32 v27, v31, v39
	v_fmamk_f32 v31, v71, 0xbf3f9e67, v35
	v_add_f32_e32 v39, v24, v22
	s_delay_alu instid0(VALU_DEP_4) | instskip(SKIP_4) | instid1(VALU_DEP_4)
	v_add_f32_e32 v32, v30, v46
	v_mul_f32_e32 v30, 0xbf29c268, v66
	v_add_f32_e32 v26, v26, v36
	v_fma_f32 v36, 0xbf3f9e67, v71, -v35
	v_add_f32_e32 v35, v31, v43
	v_fma_f32 v34, 0xbf3f9e67, v69, -v30
	v_fmac_f32_e32 v30, 0xbf3f9e67, v69
	v_mul_f32_e32 v37, 0x3f52af12, v66
	s_delay_alu instid0(VALU_DEP_3) | instskip(NEXT) | instid1(VALU_DEP_3)
	v_dual_add_f32 v31, v36, v42 :: v_dual_add_f32 v34, v34, v52
	v_add_f32_e32 v30, v30, v49
	s_delay_alu instid0(VALU_DEP_3) | instskip(SKIP_1) | instid1(VALU_DEP_2)
	v_fma_f32 v36, 0x3f116cb1, v69, -v37
	v_fmac_f32_e32 v37, 0x3f116cb1, v69
	v_add_f32_e32 v58, v36, v45
	v_dual_add_f32 v36, v12, v39 :: v_dual_add_f32 v39, v13, v40
	v_fmamk_f32 v42, v71, 0x3f116cb1, v38
	s_delay_alu instid0(VALU_DEP_4) | instskip(SKIP_1) | instid1(VALU_DEP_4)
	v_add_f32_e32 v60, v37, v41
	v_fma_f32 v37, 0x3f116cb1, v71, -v38
	v_add_f32_e32 v36, v14, v36
	v_dual_add_f32 v38, v15, v39 :: v_dual_mul_f32 v39, 0xbf6f5d39, v66
	v_add_f32_e32 v59, v42, v55
	s_delay_alu instid0(VALU_DEP_3) | instskip(NEXT) | instid1(VALU_DEP_3)
	v_dual_add_f32 v61, v37, v47 :: v_dual_add_f32 v36, v8, v36
	v_add_f32_e32 v37, v9, v38
	v_mul_f32_e32 v40, 0xbf6f5d39, v70
	v_fma_f32 v38, 0xbeb58ec6, v69, -v39
	s_delay_alu instid0(VALU_DEP_4) | instskip(NEXT) | instid1(VALU_DEP_4)
	v_dual_fmac_f32 v39, 0xbeb58ec6, v69 :: v_dual_add_f32 v36, v10, v36
	v_add_f32_e32 v37, v11, v37
	s_delay_alu instid0(VALU_DEP_3) | instskip(NEXT) | instid1(VALU_DEP_3)
	v_dual_fmamk_f32 v41, v71, 0xbeb58ec6, v40 :: v_dual_add_f32 v64, v38, v54
	v_dual_add_f32 v62, v39, v53 :: v_dual_mul_f32 v39, 0x3f7e222b, v66
	s_delay_alu instid0(VALU_DEP_3) | instskip(SKIP_1) | instid1(VALU_DEP_4)
	v_dual_add_f32 v36, v0, v36 :: v_dual_add_f32 v37, v1, v37
	v_fma_f32 v38, 0xbeb58ec6, v71, -v40
	v_dual_mul_f32 v40, 0x3f7e222b, v70 :: v_dual_add_f32 v65, v41, v44
	s_delay_alu instid0(VALU_DEP_3) | instskip(NEXT) | instid1(VALU_DEP_2)
	v_dual_sub_f32 v12, v12, v20 :: v_dual_add_f32 v37, v3, v37
	v_dual_add_f32 v36, v2, v36 :: v_dual_fmamk_f32 v41, v71, 0x3df6dbef, v40
	s_delay_alu instid0(VALU_DEP_4) | instskip(SKIP_1) | instid1(VALU_DEP_3)
	v_add_f32_e32 v63, v38, v48
	v_fma_f32 v38, 0x3df6dbef, v69, -v39
	v_dual_add_f32 v37, v5, v37 :: v_dual_add_f32 v36, v4, v36
	v_fmac_f32_e32 v39, 0x3df6dbef, v69
	s_delay_alu instid0(VALU_DEP_3) | instskip(SKIP_1) | instid1(VALU_DEP_4)
	v_dual_sub_f32 v77, v13, v21 :: v_dual_add_f32 v66, v38, v67
	v_sub_f32_e32 v38, v25, v51
	v_dual_add_f32 v36, v6, v36 :: v_dual_add_f32 v37, v7, v37
	v_add_f32_e32 v67, v41, v68
	s_delay_alu instid0(VALU_DEP_3) | instskip(SKIP_1) | instid1(VALU_DEP_4)
	v_dual_add_f32 v70, v39, v72 :: v_dual_mul_f32 v41, 0xbeedf032, v38
	v_fma_f32 v39, 0x3df6dbef, v71, -v40
	v_dual_add_f32 v36, v18, v36 :: v_dual_add_f32 v37, v19, v37
	v_add_f32_e32 v40, v50, v24
	s_delay_alu instid0(VALU_DEP_3) | instskip(NEXT) | instid1(VALU_DEP_3)
	v_dual_sub_f32 v24, v24, v50 :: v_dual_add_f32 v71, v39, v73
	v_dual_add_f32 v36, v20, v36 :: v_dual_add_f32 v37, v21, v37
	s_delay_alu instid0(VALU_DEP_3) | instskip(NEXT) | instid1(VALU_DEP_3)
	v_fma_f32 v39, 0x3f62ad3f, v40, -v41
	v_dual_add_f32 v25, v51, v25 :: v_dual_mul_f32 v42, 0xbeedf032, v24
	s_delay_alu instid0(VALU_DEP_3) | instskip(NEXT) | instid1(VALU_DEP_3)
	v_dual_add_f32 v68, v50, v36 :: v_dual_add_f32 v69, v51, v37
	v_add_f32_e32 v36, v39, v22
	v_mul_f32_e32 v46, 0xbf7e222b, v38
	s_delay_alu instid0(VALU_DEP_4)
	v_fmamk_f32 v39, v25, 0x3f62ad3f, v42
	v_mul_f32_e32 v47, 0xbf7e222b, v24
	v_mul_f32_e32 v52, 0xbf6f5d39, v24
	;; [unrolled: 1-line block ×3, first 2 shown]
	v_fma_f32 v48, 0x3df6dbef, v40, -v46
	v_add_f32_e32 v39, v39, v23
	v_mul_f32_e32 v43, 0xbf52af12, v24
	v_fmamk_f32 v50, v25, 0x3df6dbef, v47
	v_mul_f32_e32 v24, 0xbe750f2a, v24
	v_add_f32_e32 v48, v48, v22
	v_fma_f32 v42, 0x3f62ad3f, v25, -v42
	s_delay_alu instid0(VALU_DEP_4) | instskip(NEXT) | instid1(VALU_DEP_4)
	v_dual_fmamk_f32 v45, v25, 0x3f116cb1, v43 :: v_dual_add_f32 v50, v50, v23
	v_fmamk_f32 v78, v25, 0xbf788fa5, v24
	v_mul_f32_e32 v49, 0xbf6f5d39, v38
	s_delay_alu instid0(VALU_DEP_4) | instskip(NEXT) | instid1(VALU_DEP_4)
	v_dual_mul_f32 v37, 0xbf52af12, v38 :: v_dual_add_f32 v42, v42, v23
	v_add_f32_e32 v45, v45, v23
	s_delay_alu instid0(VALU_DEP_4) | instskip(NEXT) | instid1(VALU_DEP_4)
	v_add_f32_e32 v78, v78, v23
	v_fma_f32 v51, 0xbeb58ec6, v40, -v49
	s_delay_alu instid0(VALU_DEP_4)
	v_fma_f32 v44, 0x3f116cb1, v40, -v37
	v_fma_f32 v43, 0x3f116cb1, v25, -v43
	;; [unrolled: 1-line block ×3, first 2 shown]
	v_mul_f32_e32 v53, 0xbf29c268, v38
	v_add_f32_e32 v51, v51, v22
	v_mul_f32_e32 v38, 0xbe750f2a, v38
	v_dual_fmac_f32 v41, 0x3f62ad3f, v40 :: v_dual_add_f32 v44, v44, v22
	v_dual_add_f32 v43, v43, v23 :: v_dual_fmamk_f32 v54, v25, 0xbeb58ec6, v52
	s_delay_alu instid0(VALU_DEP_3)
	v_fma_f32 v76, 0xbf788fa5, v40, -v38
	v_dual_mul_f32 v109, 0xbf52af12, v77 :: v_dual_add_f32 v20, v20, v23
	v_fma_f32 v72, 0xbf3f9e67, v40, -v53
	v_fmac_f32_e32 v49, 0xbeb58ec6, v40
	v_dual_add_f32 v41, v41, v22 :: v_dual_fmac_f32 v46, 0x3df6dbef, v40
	v_fmac_f32_e32 v37, 0x3f116cb1, v40
	v_fma_f32 v52, 0xbeb58ec6, v25, -v52
	v_add_f32_e32 v54, v54, v23
	v_fma_f32 v47, 0x3df6dbef, v25, -v47
	v_add_f32_e32 v46, v46, v22
	v_add_f32_e32 v72, v72, v22
	v_dual_add_f32 v49, v49, v22 :: v_dual_fmac_f32 v38, 0xbf788fa5, v40
	v_dual_fmac_f32 v53, 0xbf3f9e67, v40 :: v_dual_add_f32 v76, v76, v22
	v_fmamk_f32 v73, v25, 0xbf3f9e67, v55
	v_fma_f32 v55, 0xbf3f9e67, v25, -v55
	v_fma_f32 v24, 0x3f116cb1, v79, -v109
	v_dual_add_f32 v37, v37, v22 :: v_dual_add_f32 v52, v52, v23
	v_add_f32_e32 v47, v47, v23
	v_add_f32_e32 v53, v53, v22
	v_dual_add_f32 v55, v55, v23 :: v_dual_add_f32 v22, v38, v22
	v_add_f32_e32 v73, v73, v23
	v_add_f32_e32 v23, v24, v36
	v_mul_f32_e32 v36, 0xbf6f5d39, v12
	v_mul_f32_e32 v24, 0xbf6f5d39, v77
	v_add_f32_e32 v13, v21, v13
	s_delay_alu instid0(VALU_DEP_2) | instskip(SKIP_2) | instid1(VALU_DEP_4)
	v_fma_f32 v38, 0xbeb58ec6, v79, -v24
	v_fmac_f32_e32 v24, 0xbeb58ec6, v79
	v_mul_f32_e32 v21, 0xbf52af12, v12
	v_fmamk_f32 v40, v13, 0xbeb58ec6, v36
	v_fma_f32 v36, 0xbeb58ec6, v13, -v36
	v_add_f32_e32 v38, v38, v44
	s_delay_alu instid0(VALU_DEP_4) | instskip(SKIP_3) | instid1(VALU_DEP_4)
	v_dual_add_f32 v24, v24, v37 :: v_dual_fmamk_f32 v25, v13, 0x3f116cb1, v21
	v_fmac_f32_e32 v109, 0x3f116cb1, v79
	v_fma_f32 v21, 0x3f116cb1, v13, -v21
	v_dual_add_f32 v36, v36, v43 :: v_dual_mul_f32 v37, 0x3f29c268, v77
	v_add_f32_e32 v25, v25, v39
	s_delay_alu instid0(VALU_DEP_4) | instskip(SKIP_4) | instid1(VALU_DEP_4)
	v_add_f32_e32 v39, v109, v41
	v_mul_f32_e32 v41, 0xbe750f2a, v77
	v_dual_add_f32 v21, v21, v42 :: v_dual_mul_f32 v42, 0xbe750f2a, v12
	v_add_f32_e32 v40, v40, v45
	v_fma_f32 v45, 0xbf3f9e67, v79, -v37
	v_fma_f32 v44, 0xbf788fa5, v79, -v41
	v_fmac_f32_e32 v37, 0xbf3f9e67, v79
	v_fmamk_f32 v43, v13, 0xbf788fa5, v42
	v_fma_f32 v42, 0xbf788fa5, v13, -v42
	s_delay_alu instid0(VALU_DEP_4) | instskip(NEXT) | instid1(VALU_DEP_4)
	v_dual_add_f32 v45, v45, v51 :: v_dual_add_f32 v44, v44, v48
	v_dual_mul_f32 v48, 0x3f29c268, v12 :: v_dual_add_f32 v37, v37, v49
	s_delay_alu instid0(VALU_DEP_1) | instskip(SKIP_1) | instid1(VALU_DEP_1)
	v_dual_add_f32 v42, v42, v47 :: v_dual_fmamk_f32 v47, v13, 0xbf3f9e67, v48
	v_fma_f32 v48, 0xbf3f9e67, v13, -v48
	v_dual_add_f32 v47, v47, v54 :: v_dual_add_f32 v48, v48, v52
	v_mul_f32_e32 v52, 0x3eedf032, v77
	s_delay_alu instid0(VALU_DEP_1) | instskip(SKIP_2) | instid1(VALU_DEP_2)
	v_fma_f32 v54, 0x3f62ad3f, v79, -v52
	v_fmac_f32_e32 v41, 0xbf788fa5, v79
	v_fmac_f32_e32 v52, 0x3f62ad3f, v79
	v_dual_add_f32 v54, v54, v76 :: v_dual_add_f32 v41, v41, v46
	v_mul_f32_e32 v46, 0x3f7e222b, v77
	s_delay_alu instid0(VALU_DEP_1) | instskip(SKIP_1) | instid1(VALU_DEP_1)
	v_fma_f32 v51, 0x3df6dbef, v79, -v46
	v_fmac_f32_e32 v46, 0x3df6dbef, v79
	v_dual_add_f32 v46, v46, v53 :: v_dual_add_f32 v43, v43, v50
	v_mul_f32_e32 v50, 0x3f7e222b, v12
	v_mul_f32_e32 v12, 0x3eedf032, v12
	s_delay_alu instid0(VALU_DEP_1) | instskip(SKIP_1) | instid1(VALU_DEP_4)
	v_dual_add_f32 v51, v51, v72 :: v_dual_fmamk_f32 v72, v13, 0x3f62ad3f, v12
	v_fma_f32 v12, 0x3f62ad3f, v13, -v12
	v_fmamk_f32 v49, v13, 0x3df6dbef, v50
	v_fma_f32 v50, 0x3df6dbef, v13, -v50
	s_delay_alu instid0(VALU_DEP_4) | instskip(NEXT) | instid1(VALU_DEP_3)
	v_add_f32_e32 v72, v72, v78
	v_dual_add_f32 v12, v12, v20 :: v_dual_add_f32 v49, v49, v73
	s_delay_alu instid0(VALU_DEP_3) | instskip(SKIP_2) | instid1(VALU_DEP_1)
	v_add_f32_e32 v50, v50, v55
	v_add_f32_e32 v55, v18, v14
	v_dual_sub_f32 v14, v14, v18 :: v_dual_sub_f32 v53, v15, v19
	v_dual_add_f32 v15, v19, v15 :: v_dual_mul_f32 v18, 0xbf7e222b, v14
	s_delay_alu instid0(VALU_DEP_2) | instskip(NEXT) | instid1(VALU_DEP_2)
	v_dual_mul_f32 v20, 0xbe750f2a, v53 :: v_dual_add_f32 v19, v52, v22
	v_fmamk_f32 v22, v15, 0x3df6dbef, v18
	s_delay_alu instid0(VALU_DEP_2) | instskip(SKIP_2) | instid1(VALU_DEP_4)
	v_fma_f32 v52, 0xbf788fa5, v55, -v20
	v_mul_f32_e32 v73, 0xbf7e222b, v53
	v_fmac_f32_e32 v20, 0xbf788fa5, v55
	v_add_f32_e32 v22, v22, v25
	s_delay_alu instid0(VALU_DEP_4) | instskip(NEXT) | instid1(VALU_DEP_4)
	v_add_f32_e32 v38, v52, v38
	v_fma_f32 v13, 0x3df6dbef, v55, -v73
	s_delay_alu instid0(VALU_DEP_4) | instskip(SKIP_1) | instid1(VALU_DEP_3)
	v_dual_fmac_f32 v73, 0x3df6dbef, v55 :: v_dual_add_f32 v20, v20, v24
	v_fma_f32 v18, 0x3df6dbef, v15, -v18
	v_dual_mul_f32 v24, 0x3eedf032, v53 :: v_dual_add_f32 v13, v13, v23
	s_delay_alu instid0(VALU_DEP_3) | instskip(SKIP_1) | instid1(VALU_DEP_4)
	v_add_f32_e32 v25, v73, v39
	v_mul_f32_e32 v39, 0x3f6f5d39, v53
	v_add_f32_e32 v18, v18, v21
	s_delay_alu instid0(VALU_DEP_2) | instskip(NEXT) | instid1(VALU_DEP_1)
	v_fma_f32 v52, 0xbeb58ec6, v55, -v39
	v_dual_mul_f32 v23, 0xbe750f2a, v14 :: v_dual_add_f32 v44, v52, v44
	s_delay_alu instid0(VALU_DEP_1) | instskip(SKIP_2) | instid1(VALU_DEP_3)
	v_fmamk_f32 v21, v15, 0xbf788fa5, v23
	v_fma_f32 v23, 0xbf788fa5, v15, -v23
	v_fma_f32 v52, 0x3f62ad3f, v55, -v24
	v_dual_fmac_f32 v24, 0x3f62ad3f, v55 :: v_dual_add_f32 v21, v21, v40
	s_delay_alu instid0(VALU_DEP_3) | instskip(NEXT) | instid1(VALU_DEP_2)
	v_dual_mul_f32 v40, 0x3f6f5d39, v14 :: v_dual_add_f32 v23, v23, v36
	v_add_f32_e32 v24, v24, v37
	s_delay_alu instid0(VALU_DEP_2) | instskip(SKIP_1) | instid1(VALU_DEP_1)
	v_fmamk_f32 v36, v15, 0xbeb58ec6, v40
	v_fma_f32 v40, 0xbeb58ec6, v15, -v40
	v_dual_add_f32 v40, v40, v42 :: v_dual_fmac_f32 v39, 0xbeb58ec6, v55
	s_delay_alu instid0(VALU_DEP_3) | instskip(NEXT) | instid1(VALU_DEP_2)
	v_dual_add_f32 v36, v36, v43 :: v_dual_mul_f32 v43, 0x3eedf032, v14
	v_add_f32_e32 v39, v39, v41
	v_dual_add_f32 v41, v52, v45 :: v_dual_mul_f32 v52, 0xbf52af12, v14
	s_delay_alu instid0(VALU_DEP_3)
	v_fmamk_f32 v45, v15, 0x3f62ad3f, v43
	v_mul_f32_e32 v42, 0xbf52af12, v53
	v_fma_f32 v43, 0x3f62ad3f, v15, -v43
	v_mul_f32_e32 v14, 0xbf29c268, v14
	v_fmamk_f32 v37, v15, 0x3f116cb1, v52
	v_add_f32_e32 v45, v45, v47
	v_fma_f32 v73, 0x3f116cb1, v55, -v42
	v_dual_add_f32 v43, v43, v48 :: v_dual_mul_f32 v48, 0xbf29c268, v53
	v_fmac_f32_e32 v42, 0x3f116cb1, v55
	s_delay_alu instid0(VALU_DEP_3) | instskip(NEXT) | instid1(VALU_DEP_3)
	v_add_f32_e32 v47, v73, v51
	v_fma_f32 v51, 0xbf3f9e67, v55, -v48
	s_delay_alu instid0(VALU_DEP_3)
	v_add_f32_e32 v42, v42, v46
	v_sub_f32_e32 v46, v9, v7
	v_add_f32_e32 v37, v37, v49
	v_fma_f32 v49, 0x3f116cb1, v15, -v52
	v_fmamk_f32 v52, v15, 0xbf3f9e67, v14
	v_add_f32_e32 v7, v7, v9
	s_delay_alu instid0(VALU_DEP_3) | instskip(SKIP_1) | instid1(VALU_DEP_4)
	v_add_f32_e32 v49, v49, v50
	v_dual_add_f32 v50, v51, v54 :: v_dual_add_f32 v51, v6, v8
	v_dual_mul_f32 v53, 0xbf6f5d39, v46 :: v_dual_add_f32 v52, v52, v72
	v_sub_f32_e32 v6, v8, v6
	v_fma_f32 v8, 0xbf3f9e67, v15, -v14
	s_delay_alu instid0(VALU_DEP_3) | instskip(NEXT) | instid1(VALU_DEP_2)
	v_fma_f32 v14, 0xbeb58ec6, v51, -v53
	v_dual_mul_f32 v9, 0xbf6f5d39, v6 :: v_dual_add_f32 v8, v8, v12
	s_delay_alu instid0(VALU_DEP_2) | instskip(NEXT) | instid1(VALU_DEP_2)
	v_dual_add_f32 v12, v14, v13 :: v_dual_mul_f32 v13, 0x3f29c268, v46
	v_fmamk_f32 v14, v7, 0xbeb58ec6, v9
	v_fma_f32 v9, 0xbeb58ec6, v7, -v9
	v_dual_fmac_f32 v48, 0xbf3f9e67, v55 :: v_dual_add_f32 v55, v2, v0
	s_delay_alu instid0(VALU_DEP_3) | instskip(NEXT) | instid1(VALU_DEP_3)
	v_add_f32_e32 v14, v14, v22
	v_add_f32_e32 v9, v9, v18
	s_delay_alu instid0(VALU_DEP_3) | instskip(SKIP_3) | instid1(VALU_DEP_1)
	v_add_f32_e32 v15, v48, v19
	v_mul_f32_e32 v19, 0x3f29c268, v6
	v_fma_f32 v48, 0xbf3f9e67, v51, -v13
	v_fmac_f32_e32 v13, 0xbf3f9e67, v51
	v_dual_fmamk_f32 v18, v7, 0xbf3f9e67, v19 :: v_dual_add_f32 v13, v13, v20
	s_delay_alu instid0(VALU_DEP_1) | instskip(NEXT) | instid1(VALU_DEP_1)
	v_dual_fmac_f32 v53, 0xbeb58ec6, v51 :: v_dual_add_f32 v18, v18, v21
	v_dual_add_f32 v22, v53, v25 :: v_dual_add_f32 v25, v48, v38
	v_fma_f32 v19, 0xbf3f9e67, v7, -v19
	s_delay_alu instid0(VALU_DEP_1) | instskip(NEXT) | instid1(VALU_DEP_1)
	v_dual_mul_f32 v38, 0x3eedf032, v46 :: v_dual_add_f32 v19, v19, v23
	v_fma_f32 v48, 0x3f62ad3f, v51, -v38
	v_fmac_f32_e32 v38, 0x3f62ad3f, v51
	s_delay_alu instid0(VALU_DEP_2) | instskip(NEXT) | instid1(VALU_DEP_1)
	v_dual_mul_f32 v21, 0x3eedf032, v6 :: v_dual_add_f32 v44, v48, v44
	v_dual_add_f32 v38, v38, v39 :: v_dual_fmamk_f32 v23, v7, 0x3f62ad3f, v21
	v_mul_f32_e32 v20, 0xbf7e222b, v46
	v_fma_f32 v21, 0x3f62ad3f, v7, -v21
	s_delay_alu instid0(VALU_DEP_3) | instskip(NEXT) | instid1(VALU_DEP_3)
	v_add_f32_e32 v23, v23, v36
	v_fma_f32 v48, 0x3df6dbef, v51, -v20
	s_delay_alu instid0(VALU_DEP_3) | instskip(NEXT) | instid1(VALU_DEP_2)
	v_dual_mul_f32 v36, 0xbf7e222b, v6 :: v_dual_add_f32 v21, v21, v40
	v_dual_fmac_f32 v20, 0x3df6dbef, v51 :: v_dual_add_f32 v39, v48, v41
	s_delay_alu instid0(VALU_DEP_2) | instskip(SKIP_1) | instid1(VALU_DEP_3)
	v_fmamk_f32 v41, v7, 0x3df6dbef, v36
	v_fma_f32 v36, 0x3df6dbef, v7, -v36
	v_add_f32_e32 v20, v20, v24
	s_delay_alu instid0(VALU_DEP_2) | instskip(NEXT) | instid1(VALU_DEP_4)
	v_add_f32_e32 v36, v36, v43
	v_dual_mul_f32 v40, 0x3e750f2a, v46 :: v_dual_add_f32 v41, v41, v45
	s_delay_alu instid0(VALU_DEP_1) | instskip(SKIP_1) | instid1(VALU_DEP_2)
	v_fma_f32 v53, 0xbf788fa5, v51, -v40
	v_mul_f32_e32 v48, 0x3e750f2a, v6
	v_dual_mul_f32 v6, 0x3f52af12, v6 :: v_dual_add_f32 v43, v53, v47
	s_delay_alu instid0(VALU_DEP_2) | instskip(NEXT) | instid1(VALU_DEP_2)
	v_fmamk_f32 v24, v7, 0xbf788fa5, v48
	v_fmamk_f32 v47, v7, 0x3f116cb1, v6
	s_delay_alu instid0(VALU_DEP_1) | instskip(NEXT) | instid1(VALU_DEP_1)
	v_dual_fmac_f32 v40, 0xbf788fa5, v51 :: v_dual_add_f32 v47, v47, v52
	v_add_f32_e32 v40, v40, v42
	v_dual_sub_f32 v42, v11, v5 :: v_dual_add_f32 v5, v5, v11
	v_dual_mul_f32 v45, 0x3f52af12, v46 :: v_dual_add_f32 v24, v24, v37
	v_fma_f32 v37, 0xbf788fa5, v7, -v48
	v_add_f32_e32 v48, v4, v10
	v_sub_f32_e32 v4, v10, v4
	s_delay_alu instid0(VALU_DEP_4) | instskip(SKIP_2) | instid1(VALU_DEP_4)
	v_fma_f32 v46, 0x3f116cb1, v51, -v45
	v_fmac_f32_e32 v45, 0x3f116cb1, v51
	v_add_f32_e32 v37, v37, v49
	v_dual_mul_f32 v49, 0xbf29c268, v42 :: v_dual_mul_f32 v10, 0xbf29c268, v4
	v_sub_f32_e32 v53, v1, v3
	s_delay_alu instid0(VALU_DEP_4) | instskip(SKIP_1) | instid1(VALU_DEP_4)
	v_add_f32_e32 v11, v45, v15
	v_fma_f32 v6, 0x3f116cb1, v7, -v6
	v_fma_f32 v7, 0xbf3f9e67, v48, -v49
	v_dual_mul_f32 v15, 0x3f7e222b, v4 :: v_dual_add_f32 v46, v46, v50
	v_add_f32_e32 v1, v3, v1
	s_delay_alu instid0(VALU_DEP_3) | instskip(SKIP_4) | instid1(VALU_DEP_2)
	v_dual_add_f32 v7, v7, v12 :: v_dual_fmamk_f32 v12, v5, 0xbf3f9e67, v10
	v_fmac_f32_e32 v49, 0xbf3f9e67, v48
	v_add_f32_e32 v6, v6, v8
	v_mul_f32_e32 v8, 0x3f7e222b, v42
	v_fma_f32 v10, 0xbf3f9e67, v5, -v10
	v_fma_f32 v45, 0x3df6dbef, v48, -v8
	s_delay_alu instid0(VALU_DEP_2) | instskip(SKIP_1) | instid1(VALU_DEP_2)
	v_dual_add_f32 v9, v10, v9 :: v_dual_fmamk_f32 v10, v5, 0x3df6dbef, v15
	v_fma_f32 v15, 0x3df6dbef, v5, -v15
	v_add_f32_e32 v10, v10, v18
	v_mul_f32_e32 v18, 0xbf52af12, v4
	v_add_f32_e32 v12, v12, v14
	v_add_f32_e32 v14, v49, v22
	v_dual_add_f32 v22, v45, v25 :: v_dual_mul_f32 v25, 0xbf52af12, v42
	s_delay_alu instid0(VALU_DEP_1) | instskip(SKIP_2) | instid1(VALU_DEP_3)
	v_fma_f32 v45, 0x3f116cb1, v48, -v25
	v_fmac_f32_e32 v25, 0x3f116cb1, v48
	v_fmac_f32_e32 v8, 0x3df6dbef, v48
	v_add_f32_e32 v44, v45, v44
	s_delay_alu instid0(VALU_DEP_2)
	v_dual_add_f32 v25, v25, v38 :: v_dual_add_f32 v8, v8, v13
	v_add_f32_e32 v13, v15, v19
	v_mul_f32_e32 v15, 0x3e750f2a, v42
	v_fmamk_f32 v19, v5, 0x3f116cb1, v18
	v_fma_f32 v18, 0x3f116cb1, v5, -v18
	v_mul_f32_e32 v38, 0x3eedf032, v42
	v_sub_f32_e32 v0, v0, v2
	v_fma_f32 v45, 0xbf788fa5, v48, -v15
	v_add_f32_e32 v19, v19, v23
	v_dual_mul_f32 v23, 0x3e750f2a, v4 :: v_dual_add_f32 v18, v18, v21
	v_fmac_f32_e32 v15, 0xbf788fa5, v48
	s_delay_alu instid0(VALU_DEP_4) | instskip(SKIP_1) | instid1(VALU_DEP_4)
	v_add_f32_e32 v21, v45, v39
	v_mul_f32_e32 v45, 0x3eedf032, v4
	v_fmamk_f32 v39, v5, 0xbf788fa5, v23
	v_fma_f32 v23, 0xbf788fa5, v5, -v23
	v_fma_f32 v49, 0x3f62ad3f, v48, -v38
	s_delay_alu instid0(VALU_DEP_4) | instskip(NEXT) | instid1(VALU_DEP_4)
	v_dual_add_f32 v15, v15, v20 :: v_dual_fmamk_f32 v20, v5, 0x3f62ad3f, v45
	v_add_f32_e32 v50, v39, v41
	s_delay_alu instid0(VALU_DEP_4) | instskip(SKIP_1) | instid1(VALU_DEP_4)
	v_dual_add_f32 v23, v23, v36 :: v_dual_mul_f32 v36, 0xbf6f5d39, v42
	v_fmac_f32_e32 v38, 0x3f62ad3f, v48
	v_add_f32_e32 v20, v20, v24
	v_fma_f32 v24, 0x3f62ad3f, v5, -v45
	v_mul_f32_e32 v3, 0xbe750f2a, v0
	v_fma_f32 v39, 0xbeb58ec6, v48, -v36
	v_fmac_f32_e32 v36, 0xbeb58ec6, v48
	v_mul_f32_e32 v4, 0xbf6f5d39, v4
	v_add_f32_e32 v52, v38, v40
	v_add_f32_e32 v24, v24, v37
	v_dual_add_f32 v54, v39, v46 :: v_dual_mul_f32 v37, 0xbe750f2a, v53
	s_delay_alu instid0(VALU_DEP_4) | instskip(SKIP_2) | instid1(VALU_DEP_4)
	v_fmamk_f32 v38, v5, 0xbeb58ec6, v4
	v_fma_f32 v2, 0xbeb58ec6, v5, -v4
	v_add_f32_e32 v49, v49, v43
	v_fma_f32 v4, 0xbf788fa5, v55, -v37
	s_delay_alu instid0(VALU_DEP_3) | instskip(SKIP_2) | instid1(VALU_DEP_3)
	v_dual_fmac_f32 v37, 0xbf788fa5, v55 :: v_dual_add_f32 v2, v2, v6
	v_fmamk_f32 v6, v1, 0xbf788fa5, v3
	v_fma_f32 v3, 0xbf788fa5, v1, -v3
	v_add_f32_e32 v123, v37, v14
	s_delay_alu instid0(VALU_DEP_3) | instskip(SKIP_2) | instid1(VALU_DEP_1)
	v_add_f32_e32 v73, v6, v12
	v_add_f32_e32 v76, v38, v47
	v_dual_add_f32 v72, v4, v7 :: v_dual_mul_f32 v7, 0x3eedf032, v0
	v_dual_add_f32 v124, v3, v9 :: v_dual_fmamk_f32 v3, v1, 0x3f62ad3f, v7
	v_fma_f32 v7, 0x3f62ad3f, v1, -v7
	s_delay_alu instid0(VALU_DEP_2) | instskip(SKIP_1) | instid1(VALU_DEP_3)
	v_add_f32_e32 v41, v3, v10
	v_mul_f32_e32 v3, 0xbf29c268, v0
	v_add_f32_e32 v39, v7, v13
	v_add_f32_e32 v5, v36, v11
	s_delay_alu instid0(VALU_DEP_3) | instskip(SKIP_2) | instid1(VALU_DEP_3)
	v_fmamk_f32 v7, v1, 0xbf3f9e67, v3
	v_mul_f32_e32 v4, 0x3eedf032, v53
	v_fma_f32 v3, 0xbf3f9e67, v1, -v3
	v_dual_mul_f32 v6, 0xbf29c268, v53 :: v_dual_add_f32 v43, v7, v19
	s_delay_alu instid0(VALU_DEP_3) | instskip(NEXT) | instid1(VALU_DEP_3)
	v_fma_f32 v11, 0x3f62ad3f, v55, -v4
	v_add_f32_e32 v37, v3, v18
	s_delay_alu instid0(VALU_DEP_3) | instskip(SKIP_1) | instid1(VALU_DEP_4)
	v_fma_f32 v9, 0xbf3f9e67, v55, -v6
	v_fmac_f32_e32 v6, 0xbf3f9e67, v55
	v_dual_mul_f32 v7, 0x3f52af12, v0 :: v_dual_add_f32 v40, v11, v22
	s_delay_alu instid0(VALU_DEP_3) | instskip(NEXT) | instid1(VALU_DEP_3)
	v_dual_mul_f32 v3, 0xbf6f5d39, v53 :: v_dual_add_f32 v42, v9, v44
	v_add_f32_e32 v36, v6, v25
	s_delay_alu instid0(VALU_DEP_3) | instskip(SKIP_4) | instid1(VALU_DEP_4)
	v_fmamk_f32 v6, v1, 0x3f116cb1, v7
	v_fmac_f32_e32 v4, 0x3f62ad3f, v55
	v_fma_f32 v7, 0x3f116cb1, v1, -v7
	v_fma_f32 v9, 0xbeb58ec6, v55, -v3
	v_fmac_f32_e32 v3, 0xbeb58ec6, v55
	v_dual_add_f32 v45, v6, v50 :: v_dual_add_f32 v38, v4, v8
	s_delay_alu instid0(VALU_DEP_4) | instskip(NEXT) | instid1(VALU_DEP_3)
	v_dual_mul_f32 v4, 0x3f52af12, v53 :: v_dual_add_f32 v51, v7, v23
	v_add_f32_e32 v48, v3, v52
	v_mul_lo_u16 v3, v128, 13
	v_add_f32_e32 v46, v9, v49
	s_delay_alu instid0(VALU_DEP_4) | instskip(NEXT) | instid1(VALU_DEP_1)
	v_fma_f32 v8, 0x3f116cb1, v55, -v4
	v_add_f32_e32 v44, v8, v21
	v_mul_f32_e32 v8, 0xbf6f5d39, v0
	v_mul_f32_e32 v0, 0x3f7e222b, v0
	s_delay_alu instid0(VALU_DEP_2) | instskip(NEXT) | instid1(VALU_DEP_2)
	v_fma_f32 v6, 0xbeb58ec6, v1, -v8
	v_fmamk_f32 v7, v1, 0x3df6dbef, v0
	v_fma_f32 v0, 0x3df6dbef, v1, -v0
	s_delay_alu instid0(VALU_DEP_3) | instskip(NEXT) | instid1(VALU_DEP_1)
	v_dual_fmac_f32 v4, 0x3f116cb1, v55 :: v_dual_add_f32 v49, v6, v24
	v_add_f32_e32 v50, v4, v15
	v_fmamk_f32 v4, v1, 0xbeb58ec6, v8
	v_and_b32_e32 v1, 0xffff, v3
	s_delay_alu instid0(VALU_DEP_2) | instskip(SKIP_1) | instid1(VALU_DEP_3)
	v_dual_add_f32 v47, v4, v20 :: v_dual_mul_f32 v4, 0x3f7e222b, v53
	v_add_f32_e32 v53, v7, v76
	v_lshl_add_u32 v138, v1, 3, v129
	ds_store_2addr_b64 v138, v[56:57], v[28:29] offset1:1
	ds_store_2addr_b64 v138, v[32:33], v[34:35] offset0:2 offset1:3
	v_fma_f32 v6, 0x3df6dbef, v55, -v4
	v_dual_fmac_f32 v4, 0x3df6dbef, v55 :: v_dual_add_f32 v55, v0, v2
	ds_store_2addr_b64 v138, v[58:59], v[64:65] offset0:4 offset1:5
	ds_store_2addr_b64 v138, v[66:67], v[70:71] offset0:6 offset1:7
	;; [unrolled: 1-line block ×4, first 2 shown]
	ds_store_b64 v138, v[16:17] offset:96
	v_add_f32_e32 v52, v6, v54
	v_add_f32_e32 v54, v4, v5
	s_and_saveexec_b32 s0, vcc_lo
	s_cbranch_execz .LBB0_7
; %bb.6:
	v_lshl_add_u32 v0, v132, 3, v129
	ds_store_2addr_b64 v0, v[68:69], v[72:73] offset1:1
	ds_store_2addr_b64 v0, v[40:41], v[42:43] offset0:2 offset1:3
	ds_store_2addr_b64 v0, v[44:45], v[46:47] offset0:4 offset1:5
	ds_store_2addr_b64 v0, v[52:53], v[54:55] offset0:6 offset1:7
	ds_store_2addr_b64 v0, v[48:49], v[50:51] offset0:8 offset1:9
	ds_store_2addr_b64 v0, v[36:37], v[38:39] offset0:10 offset1:11
	ds_store_b64 v0, v[123:124] offset:96
.LBB0_7:
	s_wait_alu 0xfffe
	s_or_b32 exec_lo, exec_lo, s0
	v_add_nc_u32_e32 v0, 0x800, v127
	global_wb scope:SCOPE_SE
	s_wait_dscnt 0x0
	s_barrier_signal -1
	s_barrier_wait -1
	global_inv scope:SCOPE_SE
	ds_load_2addr_b64 v[20:23], v127 offset1:39
	ds_load_2addr_b64 v[64:67], v127 offset0:182 offset1:221
	ds_load_2addr_b64 v[60:63], v0 offset0:108 offset1:147
	;; [unrolled: 1-line block ×5, first 2 shown]
	v_cmp_gt_u16_e64 s0, 26, v128
	s_delay_alu instid0(VALU_DEP_1)
	s_and_saveexec_b32 s1, s0
	s_cbranch_execz .LBB0_9
; %bb.8:
	v_add_nc_u32_e32 v0, 0x400, v127
	ds_load_2addr_b64 v[16:19], v0 offset0:28 offset1:210
	ds_load_b64 v[72:73], v127 offset:4160
	s_wait_dscnt 0x1
	v_dual_mov_b32 v69, v19 :: v_dual_mov_b32 v68, v18
.LBB0_9:
	s_wait_alu 0xfffe
	s_or_b32 exec_lo, exec_lo, s1
	v_and_b32_e32 v1, 0xff, v75
	v_and_b32_e32 v0, 0xff, v128
	v_add_nc_u16 v2, v128, 0x75
	v_add_nc_u16 v4, v128, 0x9c
	s_delay_alu instid0(VALU_DEP_4) | instskip(NEXT) | instid1(VALU_DEP_4)
	v_mul_lo_u16 v1, 0x4f, v1
	v_mul_lo_u16 v0, 0x4f, v0
	s_delay_alu instid0(VALU_DEP_2) | instskip(NEXT) | instid1(VALU_DEP_2)
	v_lshrrev_b16 v19, 10, v1
	v_lshrrev_b16 v18, 10, v0
	v_add_nc_u16 v0, v128, 0x4e
	s_delay_alu instid0(VALU_DEP_3) | instskip(SKIP_1) | instid1(VALU_DEP_3)
	v_mul_lo_u16 v6, v19, 13
	v_and_b32_e32 v19, 0xffff, v19
	v_and_b32_e32 v3, 0xff, v0
	v_mul_lo_u16 v1, v18, 13
	s_delay_alu instid0(VALU_DEP_4) | instskip(NEXT) | instid1(VALU_DEP_4)
	v_sub_nc_u16 v6, v75, v6
	v_mul_u32_u24_e32 v19, 39, v19
	s_delay_alu instid0(VALU_DEP_4) | instskip(NEXT) | instid1(VALU_DEP_4)
	v_mul_lo_u16 v3, 0x4f, v3
	v_sub_nc_u16 v1, v128, v1
	s_delay_alu instid0(VALU_DEP_4) | instskip(NEXT) | instid1(VALU_DEP_3)
	v_and_b32_e32 v76, 0xff, v6
	v_lshrrev_b16 v71, 10, v3
	s_delay_alu instid0(VALU_DEP_3) | instskip(NEXT) | instid1(VALU_DEP_3)
	v_and_b32_e32 v70, 0xff, v1
	v_lshlrev_b32_e32 v6, 4, v76
	v_add_nc_u32_e32 v19, v19, v76
	s_delay_alu instid0(VALU_DEP_3)
	v_lshlrev_b32_e32 v3, 4, v70
	global_load_b128 v[12:15], v6, s[2:3]
	v_and_b32_e32 v5, 0xff, v2
	v_and_b32_e32 v7, 0xff, v4
	global_load_b128 v[24:27], v3, s[2:3]
	v_lshl_add_u32 v136, v19, 3, v129
	v_mul_lo_u16 v1, 0x4f, v7
	s_delay_alu instid0(VALU_DEP_1) | instskip(SKIP_3) | instid1(VALU_DEP_2)
	v_lshrrev_b16 v77, 10, v1
	s_wait_loadcnt_dscnt 0x104
	v_mul_f32_e32 v76, v66, v13
	v_mul_lo_u16 v5, 0x4f, v5
	v_fmac_f32_e32 v76, v67, v12
	s_delay_alu instid0(VALU_DEP_2) | instskip(SKIP_2) | instid1(VALU_DEP_3)
	v_lshrrev_b16 v75, 10, v5
	v_mul_lo_u16 v5, v71, 13
	v_and_b32_e32 v71, 0xffff, v71
	v_mul_lo_u16 v1, v75, 13
	s_delay_alu instid0(VALU_DEP_3) | instskip(SKIP_1) | instid1(VALU_DEP_3)
	v_sub_nc_u16 v0, v0, v5
	v_and_b32_e32 v75, 0xffff, v75
	v_sub_nc_u16 v1, v2, v1
	s_delay_alu instid0(VALU_DEP_3) | instskip(NEXT) | instid1(VALU_DEP_2)
	v_and_b32_e32 v78, 0xff, v0
	v_and_b32_e32 v79, 0xff, v1
	s_delay_alu instid0(VALU_DEP_2) | instskip(SKIP_3) | instid1(VALU_DEP_2)
	v_lshlrev_b32_e32 v1, 4, v78
	global_load_b128 v[8:11], v1, s[2:3]
	v_and_b32_e32 v18, 0xffff, v18
	v_mul_lo_u16 v3, v77, 13
	v_mul_u32_u24_e32 v18, 39, v18
	s_delay_alu instid0(VALU_DEP_2) | instskip(NEXT) | instid1(VALU_DEP_2)
	v_sub_nc_u16 v0, v4, v3
	v_add_nc_u32_e32 v18, v18, v70
	v_mul_u32_u24_e32 v70, 39, v71
	v_mul_u32_u24_e32 v71, 39, v75
	v_mul_f32_e32 v75, v67, v13
	s_delay_alu instid0(VALU_DEP_2) | instskip(SKIP_2) | instid1(VALU_DEP_2)
	v_add_nc_u32_e32 v19, v71, v79
	s_wait_loadcnt_dscnt 0x103
	v_mul_f32_e32 v71, v60, v27
	v_lshl_add_u32 v134, v19, 3, v129
	s_delay_alu instid0(VALU_DEP_2) | instskip(SKIP_2) | instid1(VALU_DEP_2)
	v_fmac_f32_e32 v71, v61, v26
	v_mul_f32_e32 v19, v61, v27
	v_fma_f32 v61, v66, v12, -v75
	v_fma_f32 v60, v60, v26, -v19
	s_wait_loadcnt_dscnt 0x0
	v_mul_f32_e32 v67, v56, v11
	v_lshl_add_u32 v137, v18, 3, v129
	v_add_nc_u32_e32 v18, v70, v78
	v_dual_mul_f32 v78, v62, v15 :: v_dual_and_b32 v131, 0xff, v0
	v_lshlrev_b32_e32 v0, 4, v79
	v_mul_f32_e32 v70, v64, v25
	v_mul_f32_e32 v66, v57, v11
	s_delay_alu instid0(VALU_DEP_4) | instskip(NEXT) | instid1(VALU_DEP_3)
	v_dual_fmac_f32 v78, v63, v14 :: v_dual_lshlrev_b32 v1, 4, v131
	v_dual_fmac_f32 v70, v65, v24 :: v_dual_and_b32 v133, 0xffff, v77
	v_mul_f32_e32 v77, v63, v15
	v_mul_f32_e32 v63, v33, v9
	s_clause 0x1
	global_load_b128 v[4:7], v0, s[2:3]
	global_load_b128 v[0:3], v1, s[2:3]
	v_fma_f32 v66, v56, v10, -v66
	global_wb scope:SCOPE_SE
	s_wait_loadcnt 0x0
	v_fma_f32 v62, v62, v14, -v77
	v_fma_f32 v63, v32, v8, -v63
	s_barrier_signal -1
	s_barrier_wait -1
	global_inv scope:SCOPE_SE
	v_mul_f32_e32 v75, v35, v5
	v_lshl_add_u32 v135, v18, 3, v129
	v_mul_f32_e32 v18, v65, v25
	v_mul_f32_e32 v65, v32, v9
	;; [unrolled: 1-line block ×5, first 2 shown]
	v_fma_f32 v64, v64, v24, -v18
	v_mul_f32_e32 v18, v72, v3
	v_mul_f32_e32 v79, v59, v7
	;; [unrolled: 1-line block ×3, first 2 shown]
	v_fmac_f32_e32 v65, v33, v8
	v_dual_add_f32 v56, v20, v64 :: v_dual_mul_f32 v109, v58, v7
	v_fma_f32 v34, v34, v4, -v75
	v_fma_f32 v33, v68, v0, -v110
	v_fmac_f32_e32 v19, v69, v0
	v_fmac_f32_e32 v18, v73, v2
	v_sub_f32_e32 v68, v70, v71
	v_dual_add_f32 v69, v70, v71 :: v_dual_add_f32 v56, v56, v60
	v_fmac_f32_e32 v109, v59, v6
	v_dual_add_f32 v59, v21, v70 :: v_dual_add_f32 v70, v22, v61
	v_fmac_f32_e32 v67, v57, v10
	v_add_f32_e32 v57, v64, v60
	v_sub_f32_e32 v64, v64, v60
	v_sub_f32_e32 v73, v76, v78
	v_add_f32_e32 v60, v70, v62
	v_add_f32_e32 v70, v63, v66
	v_fma_f32 v32, v72, v2, -v111
	v_add_f32_e32 v72, v61, v62
	s_delay_alu instid0(VALU_DEP_2) | instskip(NEXT) | instid1(VALU_DEP_2)
	v_add_f32_e32 v113, v33, v32
	v_fma_f32 v22, -0.5, v72, v22
	v_dual_add_f32 v75, v23, v76 :: v_dual_add_f32 v76, v76, v78
	s_delay_alu instid0(VALU_DEP_1)
	v_dual_fmac_f32 v23, -0.5, v76 :: v_dual_sub_f32 v76, v63, v66
	v_fmac_f32_e32 v77, v35, v4
	v_fma_f32 v35, v58, v6, -v79
	v_sub_f32_e32 v79, v61, v62
	v_add_f32_e32 v61, v75, v78
	v_add_f32_e32 v78, v30, v34
	;; [unrolled: 1-line block ×6, first 2 shown]
	v_fma_f32 v58, -0.5, v57, v20
	v_sub_f32_e32 v34, v34, v35
	v_dual_sub_f32 v20, v19, v18 :: v_dual_sub_f32 v111, v77, v109
	v_fma_f32 v30, -0.5, v110, v30
	s_delay_alu instid0(VALU_DEP_4)
	v_dual_add_f32 v77, v77, v109 :: v_dual_fmamk_f32 v62, v68, 0x3f5db3d7, v58
	v_add_f32_e32 v57, v59, v71
	v_fma_f32 v59, -0.5, v69, v21
	v_fmac_f32_e32 v58, 0xbf5db3d7, v68
	v_fma_f32 v68, -0.5, v70, v28
	v_fmac_f32_e32 v31, -0.5, v77
	v_sub_f32_e32 v75, v65, v67
	v_add_f32_e32 v69, v28, v63
	v_sub_f32_e32 v21, v33, v32
	v_fmamk_f32 v63, v64, 0xbf5db3d7, v59
	v_dual_fmac_f32 v59, 0x3f5db3d7, v64 :: v_dual_fmamk_f32 v64, v73, 0x3f5db3d7, v22
	s_delay_alu instid0(VALU_DEP_4) | instskip(SKIP_3) | instid1(VALU_DEP_3)
	v_add_f32_e32 v66, v69, v66
	v_fma_f32 v69, -0.5, v72, v29
	v_fmac_f32_e32 v22, 0xbf5db3d7, v73
	v_fma_f32 v28, -0.5, v113, v16
	v_dual_add_f32 v70, v78, v35 :: v_dual_fmamk_f32 v73, v76, 0xbf5db3d7, v69
	v_fmac_f32_e32 v69, 0x3f5db3d7, v76
	v_fmamk_f32 v76, v34, 0xbf5db3d7, v31
	v_dual_fmamk_f32 v72, v75, 0x3f5db3d7, v68 :: v_dual_add_f32 v71, v29, v65
	v_fmac_f32_e32 v68, 0xbf5db3d7, v75
	v_fma_f32 v29, -0.5, v114, v17
	v_fmac_f32_e32 v31, 0x3f5db3d7, v34
	v_dual_fmamk_f32 v34, v20, 0xbf5db3d7, v28 :: v_dual_fmamk_f32 v65, v79, 0xbf5db3d7, v23
	v_fmac_f32_e32 v23, 0x3f5db3d7, v79
	s_delay_alu instid0(VALU_DEP_4)
	v_fmamk_f32 v35, v21, 0x3f5db3d7, v29
	v_add_f32_e32 v67, v71, v67
	v_add_f32_e32 v71, v112, v109
	v_fmamk_f32 v75, v111, 0x3f5db3d7, v30
	v_fmac_f32_e32 v30, 0xbf5db3d7, v111
	ds_store_2addr_b64 v137, v[56:57], v[62:63] offset1:13
	ds_store_b64 v137, v[58:59] offset:208
	ds_store_2addr_b64 v136, v[60:61], v[64:65] offset1:13
	ds_store_b64 v136, v[22:23] offset:208
	;; [unrolled: 2-line block ×4, first 2 shown]
	s_and_saveexec_b32 s1, s0
	s_cbranch_execz .LBB0_11
; %bb.10:
	v_mul_u32_u24_e32 v22, 39, v133
	v_dual_mul_f32 v21, 0x3f5db3d7, v21 :: v_dual_mul_f32 v20, 0x3f5db3d7, v20
	v_add_f32_e32 v19, v17, v19
	s_delay_alu instid0(VALU_DEP_3) | instskip(NEXT) | instid1(VALU_DEP_3)
	v_dual_add_f32 v23, v16, v33 :: v_dual_add_nc_u32 v22, v22, v131
	v_dual_sub_f32 v17, v29, v21 :: v_dual_add_f32 v16, v20, v28
	s_delay_alu instid0(VALU_DEP_3) | instskip(NEXT) | instid1(VALU_DEP_3)
	v_add_f32_e32 v19, v19, v18
	v_add_f32_e32 v18, v23, v32
	s_delay_alu instid0(VALU_DEP_4)
	v_lshl_add_u32 v20, v22, 3, v129
	ds_store_2addr_b64 v20, v[18:19], v[16:17] offset1:13
	ds_store_b64 v20, v[34:35] offset:208
.LBB0_11:
	s_wait_alu 0xfffe
	s_or_b32 exec_lo, exec_lo, s1
	v_mad_co_u64_u32 v[32:33], null, v128, 48, s[2:3]
	global_wb scope:SCOPE_SE
	s_wait_dscnt 0x0
	s_barrier_signal -1
	s_barrier_wait -1
	global_inv scope:SCOPE_SE
	v_mul_i32_i24_e32 v70, 0xffffffd8, v128
	v_mul_hi_i32_i24_e32 v69, 0xffffffd8, v128
	s_clause 0x2
	global_load_b128 v[28:31], v[32:33], off offset:208
	global_load_b128 v[20:23], v[32:33], off offset:224
	;; [unrolled: 1-line block ×3, first 2 shown]
	ds_load_2addr_b64 v[57:60], v127 offset0:78 offset1:117
	v_add_nc_u32_e32 v56, 0x400, v127
	v_add_nc_u32_e32 v72, 0x800, v127
	v_add_co_u32 v32, s1, v32, v70
	s_wait_alu 0xf1ff
	v_add_co_ci_u32_e64 v33, s1, v33, v69, s1
	s_add_nc_u64 s[2:3], s[12:13], 0x1110
	s_wait_loadcnt_dscnt 0x200
	v_mul_f32_e32 v69, v58, v29
	ds_load_2addr_b64 v[61:64], v127 offset0:156 offset1:195
	ds_load_2addr_b64 v[65:68], v56 offset0:106 offset1:145
	;; [unrolled: 1-line block ×3, first 2 shown]
	ds_load_2addr_b64 v[109:112], v127 offset1:39
	ds_load_2addr_b64 v[113:116], v72 offset0:134 offset1:173
	v_mul_f32_e32 v70, v57, v29
	v_mul_f32_e32 v141, v60, v29
	v_mul_f32_e32 v142, v59, v29
	v_fma_f32 v57, v57, v28, -v69
	s_delay_alu instid0(VALU_DEP_3)
	v_fma_f32 v59, v59, v28, -v141
	s_wait_dscnt 0x4
	v_mul_f32_e32 v71, v62, v31
	s_wait_loadcnt_dscnt 0x103
	v_mul_f32_e32 v79, v66, v21
	ds_load_2addr_b64 v[117:120], v72 offset0:212 offset1:251
	s_wait_dscnt 0x3
	v_dual_mul_f32 v121, v65, v21 :: v_dual_mul_f32 v122, v76, v23
	v_dual_mul_f32 v143, v64, v31 :: v_dual_mul_f32 v146, v67, v21
	s_wait_loadcnt_dscnt 0x1
	v_dual_mul_f32 v73, v61, v31 :: v_dual_mul_f32 v126, v114, v17
	v_dual_mul_f32 v125, v75, v23 :: v_dual_mul_f32 v130, v113, v17
	;; [unrolled: 1-line block ×5, first 2 shown]
	v_fmac_f32_e32 v70, v58, v28
	s_delay_alu instid0(VALU_DEP_4)
	v_dual_fmac_f32 v121, v66, v20 :: v_dual_fmac_f32 v144, v64, v30
	v_fma_f32 v58, v61, v30, -v71
	v_fmac_f32_e32 v73, v62, v30
	s_wait_dscnt 0x0
	v_mul_f32_e32 v139, v118, v19
	v_mul_f32_e32 v140, v117, v19
	;; [unrolled: 1-line block ×4, first 2 shown]
	v_fma_f32 v61, v65, v20, -v79
	v_fma_f32 v66, v117, v18, -v139
	v_fmac_f32_e32 v146, v68, v20
	v_fma_f32 v68, v119, v18, -v151
	v_dual_fmac_f32 v125, v76, v22 :: v_dual_fmac_f32 v130, v114, v16
	v_fma_f32 v65, v113, v16, -v126
	v_fmac_f32_e32 v140, v118, v18
	v_fma_f32 v62, v75, v22, -v122
	v_dual_fmac_f32 v142, v60, v28 :: v_dual_add_f32 v69, v57, v66
	v_fma_f32 v60, v63, v30, -v143
	v_fma_f32 v63, v67, v20, -v145
	;; [unrolled: 1-line block ×4, first 2 shown]
	v_dual_fmac_f32 v150, v116, v16 :: v_dual_add_f32 v75, v73, v130
	v_dual_add_f32 v77, v59, v68 :: v_dual_fmac_f32 v152, v120, v18
	v_add_f32_e32 v71, v70, v140
	v_dual_fmac_f32 v148, v78, v22 :: v_dual_sub_f32 v59, v59, v68
	v_dual_sub_f32 v57, v57, v66 :: v_dual_sub_f32 v66, v70, v140
	v_add_f32_e32 v70, v58, v65
	v_dual_sub_f32 v58, v58, v65 :: v_dual_add_f32 v79, v60, v67
	v_sub_f32_e32 v65, v73, v130
	v_add_f32_e32 v73, v61, v62
	v_dual_add_f32 v76, v121, v125 :: v_dual_add_f32 v113, v144, v150
	v_dual_sub_f32 v61, v62, v61 :: v_dual_sub_f32 v60, v60, v67
	v_dual_sub_f32 v62, v125, v121 :: v_dual_sub_f32 v67, v144, v150
	v_add_f32_e32 v78, v142, v152
	v_dual_sub_f32 v68, v142, v152 :: v_dual_add_f32 v117, v75, v71
	v_add_f32_e32 v114, v63, v64
	v_add_f32_e32 v115, v146, v148
	v_sub_f32_e32 v63, v64, v63
	v_sub_f32_e32 v64, v148, v146
	v_dual_add_f32 v116, v70, v69 :: v_dual_sub_f32 v119, v75, v71
	v_dual_sub_f32 v118, v70, v69 :: v_dual_sub_f32 v71, v71, v76
	v_sub_f32_e32 v69, v69, v73
	v_dual_sub_f32 v70, v73, v70 :: v_dual_sub_f32 v75, v76, v75
	v_dual_add_f32 v120, v61, v58 :: v_dual_add_f32 v121, v62, v65
	v_dual_sub_f32 v122, v61, v58 :: v_dual_sub_f32 v125, v62, v65
	v_dual_sub_f32 v126, v58, v57 :: v_dual_sub_f32 v65, v65, v66
	v_add_f32_e32 v58, v79, v77
	v_dual_add_f32 v130, v113, v78 :: v_dual_sub_f32 v139, v79, v77
	v_dual_sub_f32 v140, v113, v78 :: v_dual_sub_f32 v79, v114, v79
	v_dual_sub_f32 v77, v77, v114 :: v_dual_sub_f32 v78, v78, v115
	v_sub_f32_e32 v113, v115, v113
	v_dual_add_f32 v141, v63, v60 :: v_dual_add_f32 v142, v64, v67
	v_dual_sub_f32 v143, v63, v60 :: v_dual_sub_f32 v144, v64, v67
	v_sub_f32_e32 v145, v60, v59
	v_dual_sub_f32 v67, v67, v68 :: v_dual_add_f32 v76, v76, v117
	v_dual_add_f32 v73, v73, v116 :: v_dual_add_f32 v116, v120, v57
	v_dual_sub_f32 v61, v57, v61 :: v_dual_sub_f32 v62, v66, v62
	v_add_f32_e32 v66, v121, v66
	v_dual_mul_f32 v60, 0x3f4a47b2, v69 :: v_dual_mul_f32 v69, 0x3f4a47b2, v71
	v_mul_f32_e32 v71, 0x3d64c772, v70
	v_dual_mul_f32 v117, 0x3d64c772, v75 :: v_dual_add_f32 v114, v114, v58
	v_dual_mul_f32 v120, 0xbf08b237, v122 :: v_dual_mul_f32 v121, 0xbf08b237, v125
	v_dual_mul_f32 v122, 0x3f5ff5aa, v126 :: v_dual_mul_f32 v125, 0x3f5ff5aa, v65
	v_add_f32_e32 v115, v115, v130
	v_dual_sub_f32 v63, v59, v63 :: v_dual_sub_f32 v64, v68, v64
	v_add_f32_e32 v130, v141, v59
	v_dual_add_f32 v68, v142, v68 :: v_dual_mul_f32 v77, 0x3f4a47b2, v77
	v_mul_f32_e32 v78, 0x3f4a47b2, v78
	v_dual_mul_f32 v141, 0x3d64c772, v79 :: v_dual_mul_f32 v142, 0x3d64c772, v113
	v_dual_mul_f32 v143, 0xbf08b237, v143 :: v_dual_mul_f32 v144, 0xbf08b237, v144
	;; [unrolled: 1-line block ×3, first 2 shown]
	v_dual_add_f32 v57, v109, v73 :: v_dual_add_f32 v58, v110, v76
	v_dual_fmamk_f32 v70, v70, 0x3d64c772, v60 :: v_dual_fmamk_f32 v75, v75, 0x3d64c772, v69
	v_fma_f32 v71, 0x3f3bfb3b, v118, -v71
	v_fma_f32 v109, 0x3f3bfb3b, v119, -v117
	v_fma_f32 v110, 0xbf3bfb3b, v118, -v60
	v_fma_f32 v69, 0xbf3bfb3b, v119, -v69
	v_dual_fmamk_f32 v117, v61, 0x3eae86e6, v120 :: v_dual_fmamk_f32 v118, v62, 0x3eae86e6, v121
	v_fma_f32 v119, 0x3f5ff5aa, v126, -v120
	v_fma_f32 v120, 0x3f5ff5aa, v65, -v121
	;; [unrolled: 1-line block ×4, first 2 shown]
	v_dual_add_f32 v59, v111, v114 :: v_dual_add_f32 v60, v112, v115
	v_dual_fmamk_f32 v61, v79, 0x3d64c772, v77 :: v_dual_fmamk_f32 v62, v113, 0x3d64c772, v78
	v_fma_f32 v65, 0x3f3bfb3b, v139, -v141
	v_fma_f32 v79, 0x3f3bfb3b, v140, -v142
	;; [unrolled: 1-line block ×4, first 2 shown]
	v_dual_fmamk_f32 v125, v63, 0x3eae86e6, v143 :: v_dual_fmamk_f32 v126, v64, 0x3eae86e6, v144
	v_fma_f32 v139, 0x3f5ff5aa, v145, -v143
	v_fma_f32 v140, 0xbeae86e6, v63, -v146
	;; [unrolled: 1-line block ×3, first 2 shown]
	v_dual_fmamk_f32 v63, v73, 0xbf955555, v57 :: v_dual_fmamk_f32 v64, v76, 0xbf955555, v58
	v_fma_f32 v113, 0x3f5ff5aa, v67, -v144
	v_dual_fmac_f32 v117, 0x3ee1c552, v116 :: v_dual_fmac_f32 v118, 0x3ee1c552, v66
	v_dual_fmac_f32 v119, 0x3ee1c552, v116 :: v_dual_fmac_f32 v120, 0x3ee1c552, v66
	;; [unrolled: 1-line block ×3, first 2 shown]
	v_dual_fmamk_f32 v66, v114, 0xbf955555, v59 :: v_dual_fmamk_f32 v67, v115, 0xbf955555, v60
	v_dual_fmac_f32 v139, 0x3ee1c552, v130 :: v_dual_add_f32 v76, v75, v64
	v_dual_add_f32 v73, v70, v63 :: v_dual_add_f32 v70, v109, v64
	v_dual_fmac_f32 v125, 0x3ee1c552, v130 :: v_dual_fmac_f32 v126, 0x3ee1c552, v68
	v_dual_fmac_f32 v113, 0x3ee1c552, v68 :: v_dual_fmac_f32 v140, 0x3ee1c552, v130
	v_dual_fmac_f32 v141, 0x3ee1c552, v68 :: v_dual_add_f32 v68, v71, v63
	v_dual_add_f32 v71, v110, v63 :: v_dual_add_f32 v130, v61, v66
	v_dual_add_f32 v75, v69, v64 :: v_dual_add_f32 v142, v62, v67
	;; [unrolled: 1-line block ×5, first 2 shown]
	v_dual_sub_f32 v62, v76, v117 :: v_dual_add_f32 v63, v122, v71
	v_dual_sub_f32 v64, v75, v121 :: v_dual_sub_f32 v65, v68, v120
	v_dual_add_f32 v67, v120, v68 :: v_dual_sub_f32 v68, v70, v119
	v_dual_sub_f32 v69, v71, v122 :: v_dual_add_f32 v70, v121, v75
	v_dual_sub_f32 v75, v73, v118 :: v_dual_sub_f32 v78, v142, v125
	v_dual_add_f32 v76, v117, v76 :: v_dual_add_f32 v77, v126, v130
	v_dual_add_f32 v109, v141, v115 :: v_dual_sub_f32 v110, v116, v140
	v_dual_sub_f32 v111, v114, v113 :: v_dual_add_f32 v112, v139, v79
	v_dual_add_f32 v113, v113, v114 :: v_dual_sub_f32 v114, v79, v139
	v_dual_sub_f32 v115, v115, v141 :: v_dual_add_f32 v116, v140, v116
	v_sub_f32_e32 v117, v130, v126
	v_add_f32_e32 v118, v125, v142
	global_wb scope:SCOPE_SE
	s_barrier_signal -1
	s_barrier_wait -1
	global_inv scope:SCOPE_SE
	ds_store_2addr_b64 v127, v[57:58], v[61:62] offset1:39
	ds_store_2addr_b64 v127, v[63:64], v[65:66] offset0:78 offset1:117
	ds_store_2addr_b64 v127, v[67:68], v[69:70] offset0:156 offset1:195
	;; [unrolled: 1-line block ×6, first 2 shown]
	global_wb scope:SCOPE_SE
	s_wait_dscnt 0x0
	s_barrier_signal -1
	s_barrier_wait -1
	global_inv scope:SCOPE_SE
	s_clause 0x6
	global_load_b64 v[117:118], v[32:33], off offset:2080
	global_load_b64 v[121:122], v[32:33], off offset:2392
	global_load_b64 v[113:114], v[32:33], off offset:2704
	global_load_b64 v[119:120], v[32:33], off offset:3016
	global_load_b64 v[109:110], v[32:33], off offset:3328
	global_load_b64 v[111:112], v[32:33], off offset:3640
	global_load_b64 v[115:116], v[32:33], off offset:3952
	ds_load_2addr_b64 v[57:60], v56 offset0:106 offset1:145
	ds_load_2addr_b64 v[61:64], v72 offset0:56 offset1:95
	;; [unrolled: 1-line block ×4, first 2 shown]
	ds_load_2addr_b64 v[139:142], v127 offset1:39
	ds_load_2addr_b64 v[143:146], v127 offset0:78 offset1:117
	ds_load_2addr_b64 v[147:150], v127 offset0:156 offset1:195
	v_lshl_add_u32 v130, v128, 3, v129
	s_delay_alu instid0(VALU_DEP_1)
	v_add_nc_u32_e32 v71, 0x800, v130
	s_wait_loadcnt_dscnt 0x606
	v_mul_f32_e32 v33, v59, v118
	s_wait_loadcnt_dscnt 0x505
	v_mul_f32_e32 v70, v61, v122
	v_mul_f32_e32 v32, v60, v118
	s_wait_loadcnt_dscnt 0x304
	v_dual_mul_f32 v126, v65, v120 :: v_dual_mul_f32 v79, v63, v114
	s_wait_loadcnt_dscnt 0x103
	v_mul_f32_e32 v153, v76, v112
	v_dual_mul_f32 v73, v64, v114 :: v_dual_fmac_f32 v70, v62, v121
	s_wait_loadcnt 0x0
	v_mul_f32_e32 v156, v77, v116
	v_dual_mul_f32 v152, v67, v110 :: v_dual_fmac_f32 v33, v60, v117
	v_mul_f32_e32 v69, v62, v122
	v_mul_f32_e32 v125, v66, v120
	s_delay_alu instid0(VALU_DEP_4)
	v_dual_mul_f32 v151, v68, v110 :: v_dual_fmac_f32 v156, v78, v115
	v_mul_f32_e32 v154, v75, v112
	v_mul_f32_e32 v155, v78, v116
	v_fma_f32 v63, v63, v113, -v73
	v_dual_fmac_f32 v126, v66, v119 :: v_dual_fmac_f32 v79, v64, v113
	s_wait_dscnt 0x2
	v_sub_f32_e32 v62, v142, v70
	v_fmac_f32_e32 v152, v68, v109
	v_fma_f32 v61, v61, v121, -v69
	v_fma_f32 v32, v59, v117, -v32
	v_fma_f32 v65, v65, v119, -v125
	v_fma_f32 v67, v67, v109, -v151
	v_fma_f32 v69, v75, v111, -v153
	s_delay_alu instid0(VALU_DEP_4)
	v_dual_fmac_f32 v154, v76, v111 :: v_dual_sub_f32 v59, v139, v32
	v_fma_f32 v73, v77, v115, -v155
	s_wait_dscnt 0x1
	v_dual_sub_f32 v60, v140, v33 :: v_dual_sub_f32 v63, v143, v63
	v_dual_sub_f32 v61, v141, v61 :: v_dual_sub_f32 v64, v144, v79
	;; [unrolled: 1-line block ×3, first 2 shown]
	s_wait_dscnt 0x0
	v_dual_sub_f32 v67, v147, v67 :: v_dual_sub_f32 v68, v148, v152
	v_dual_sub_f32 v69, v149, v69 :: v_dual_sub_f32 v70, v150, v154
	;; [unrolled: 1-line block ×3, first 2 shown]
	v_fma_f32 v77, v141, 2.0, -v61
	v_fma_f32 v78, v142, 2.0, -v62
	;; [unrolled: 1-line block ×14, first 2 shown]
	ds_store_2addr_b64 v71, v[59:60], v[61:62] offset0:17 offset1:56
	ds_store_2addr_b64 v71, v[63:64], v[65:66] offset0:95 offset1:134
	ds_store_2addr_b64 v130, v[77:78], v[125:126] offset0:39 offset1:78
	ds_store_2addr_b64 v130, v[139:140], v[141:142] offset0:117 offset1:156
	ds_store_b64 v130, v[67:68] offset:3432
	ds_store_b64 v130, v[143:144] offset:1560
	ds_store_b64 v127, v[75:76]
	ds_store_b64 v127, v[69:70] offset:3744
	ds_store_b64 v130, v[57:58] offset:1872
	ds_store_b64 v127, v[32:33] offset:4056
	global_wb scope:SCOPE_SE
	s_wait_dscnt 0x0
	s_barrier_signal -1
	s_barrier_wait -1
	global_inv scope:SCOPE_SE
	s_clause 0xc
	global_load_b64 v[69:70], v[80:81], off offset:4368
	global_load_b64 v[125:126], v74, s[2:3] offset:336
	global_load_b64 v[147:148], v74, s[2:3] offset:672
	;; [unrolled: 1-line block ×12, first 2 shown]
	ds_load_2addr_b64 v[57:60], v127 offset1:42
	ds_load_2addr_b64 v[61:64], v127 offset0:84 offset1:126
	ds_load_2addr_b64 v[65:68], v127 offset0:168 offset1:210
	;; [unrolled: 1-line block ×5, first 2 shown]
	ds_load_b64 v[169:170], v127 offset:4032
	s_wait_loadcnt_dscnt 0xc06
	v_mul_f32_e32 v73, v58, v70
	v_mul_f32_e32 v71, v57, v70
	s_wait_loadcnt 0xb
	v_mul_f32_e32 v171, v60, v126
	s_wait_loadcnt_dscnt 0xa05
	v_dual_mul_f32 v172, v59, v126 :: v_dual_mul_f32 v173, v62, v148
	v_mul_f32_e32 v126, v61, v148
	s_wait_loadcnt_dscnt 0x804
	v_dual_mul_f32 v174, v64, v150 :: v_dual_mul_f32 v175, v66, v152
	s_wait_loadcnt_dscnt 0x603
	v_dual_mul_f32 v148, v63, v150 :: v_dual_mul_f32 v177, v76, v156
	v_mul_f32_e32 v150, v65, v152
	s_wait_loadcnt_dscnt 0x402
	v_dual_mul_f32 v176, v68, v154 :: v_dual_mul_f32 v79, v139, v160
	v_dual_mul_f32 v152, v67, v154 :: v_dual_mul_f32 v179, v140, v160
	v_mul_f32_e32 v154, v75, v156
	s_wait_loadcnt_dscnt 0x201
	v_dual_mul_f32 v178, v78, v158 :: v_dual_mul_f32 v181, v144, v164
	v_dual_mul_f32 v156, v77, v158 :: v_dual_fmac_f32 v71, v58, v69
	v_dual_mul_f32 v180, v142, v162 :: v_dual_fmac_f32 v79, v140, v159
	v_mul_f32_e32 v158, v141, v162
	v_mul_f32_e32 v160, v143, v164
	s_wait_loadcnt 0x1
	v_mul_f32_e32 v182, v146, v166
	v_mul_f32_e32 v162, v145, v166
	s_wait_loadcnt_dscnt 0x0
	v_mul_f32_e32 v166, v170, v168
	v_mul_f32_e32 v164, v169, v168
	v_fma_f32 v70, v57, v69, -v73
	v_fma_f32 v171, v59, v125, -v171
	v_fmac_f32_e32 v172, v60, v125
	v_fma_f32 v125, v61, v147, -v173
	v_fmac_f32_e32 v126, v62, v147
	;; [unrolled: 2-line block ×7, first 2 shown]
	v_fma_f32 v78, v139, v159, -v179
	v_fma_f32 v157, v141, v161, -v180
	v_fmac_f32_e32 v158, v142, v161
	v_fma_f32 v159, v143, v163, -v181
	v_fmac_f32_e32 v160, v144, v163
	;; [unrolled: 2-line block ×4, first 2 shown]
	ds_store_2addr_b64 v127, v[70:71], v[171:172] offset1:42
	ds_store_2addr_b64 v127, v[125:126], v[147:148] offset0:84 offset1:126
	ds_store_2addr_b64 v127, v[149:150], v[151:152] offset0:168 offset1:210
	;; [unrolled: 1-line block ×5, first 2 shown]
	ds_store_b64 v127, v[163:164] offset:4032
	s_and_saveexec_b32 s1, vcc_lo
	s_cbranch_execz .LBB0_13
; %bb.12:
	s_wait_alu 0xfffe
	v_add_co_u32 v57, s2, s2, v74
	s_wait_alu 0xf1ff
	v_add_co_ci_u32_e64 v58, null, s3, 0, s2
	s_clause 0xc
	global_load_b64 v[59:60], v[57:58], off offset:312
	global_load_b64 v[69:70], v[57:58], off offset:648
	;; [unrolled: 1-line block ×13, first 2 shown]
	ds_load_b64 v[57:58], v130 offset:312
	v_add_nc_u32_e32 v166, 0xc00, v127
	s_wait_loadcnt_dscnt 0xc00
	v_mul_f32_e32 v62, v58, v60
	v_mul_f32_e32 v61, v57, v60
	s_delay_alu instid0(VALU_DEP_2) | instskip(NEXT) | instid1(VALU_DEP_2)
	v_fma_f32 v60, v57, v59, -v62
	v_fmac_f32_e32 v61, v58, v59
	ds_store_b64 v130, v[60:61] offset:312
	ds_load_2addr_b64 v[57:60], v127 offset0:81 offset1:123
	ds_load_2addr_b64 v[61:64], v127 offset0:165 offset1:207
	;; [unrolled: 1-line block ×6, first 2 shown]
	s_wait_loadcnt_dscnt 0xa05
	v_mul_f32_e32 v168, v60, v78
	s_wait_loadcnt_dscnt 0x804
	v_dual_mul_f32 v167, v58, v70 :: v_dual_mul_f32 v170, v64, v148
	v_mul_f32_e32 v71, v57, v70
	s_wait_loadcnt_dscnt 0x603
	v_dual_mul_f32 v79, v59, v78 :: v_dual_mul_f32 v172, v68, v152
	v_mul_f32_e32 v169, v62, v126
	v_dual_mul_f32 v165, v61, v126 :: v_dual_mul_f32 v126, v63, v148
	s_wait_loadcnt_dscnt 0x402
	v_dual_mul_f32 v171, v66, v150 :: v_dual_mul_f32 v174, v76, v156
	v_dual_mul_f32 v148, v65, v150 :: v_dual_fmac_f32 v71, v58, v69
	v_dual_mul_f32 v150, v67, v152 :: v_dual_mul_f32 v173, v74, v154
	v_dual_mul_f32 v152, v73, v154 :: v_dual_fmac_f32 v79, v60, v77
	s_wait_loadcnt_dscnt 0x301
	v_dual_mul_f32 v154, v75, v156 :: v_dual_mul_f32 v175, v140, v158
	s_wait_loadcnt 0x2
	v_mul_f32_e32 v176, v142, v160
	v_dual_mul_f32 v156, v139, v158 :: v_dual_fmac_f32 v165, v62, v125
	s_wait_loadcnt_dscnt 0x100
	v_dual_mul_f32 v158, v141, v160 :: v_dual_mul_f32 v177, v144, v162
	v_mul_f32_e32 v160, v143, v162
	s_wait_loadcnt 0x0
	v_mul_f32_e32 v178, v146, v164
	v_mul_f32_e32 v162, v145, v164
	v_fma_f32 v70, v57, v69, -v167
	v_fma_f32 v78, v59, v77, -v168
	;; [unrolled: 1-line block ×4, first 2 shown]
	v_fmac_f32_e32 v126, v64, v147
	v_fma_f32 v147, v65, v149, -v171
	v_fmac_f32_e32 v148, v66, v149
	v_fma_f32 v149, v67, v151, -v172
	;; [unrolled: 2-line block ×8, first 2 shown]
	v_fmac_f32_e32 v162, v146, v163
	ds_store_2addr_b64 v127, v[70:71], v[78:79] offset0:81 offset1:123
	ds_store_2addr_b64 v127, v[164:165], v[125:126] offset0:165 offset1:207
	;; [unrolled: 1-line block ×6, first 2 shown]
.LBB0_13:
	s_wait_alu 0xfffe
	s_or_b32 exec_lo, exec_lo, s1
	global_wb scope:SCOPE_SE
	s_wait_dscnt 0x0
	s_barrier_signal -1
	s_barrier_wait -1
	global_inv scope:SCOPE_SE
	ds_load_2addr_b64 v[76:79], v127 offset1:42
	ds_load_2addr_b64 v[68:71], v127 offset0:84 offset1:126
	ds_load_2addr_b64 v[60:63], v127 offset0:168 offset1:210
	;; [unrolled: 1-line block ×5, first 2 shown]
	ds_load_b64 v[125:126], v127 offset:4032
	s_and_saveexec_b32 s1, vcc_lo
	s_cbranch_execz .LBB0_15
; %bb.14:
	v_add_nc_u32_e32 v36, 0x800, v130
	ds_load_2addr_b64 v[32:35], v130 offset0:39 offset1:81
	ds_load_2addr_b64 v[40:43], v130 offset0:123 offset1:165
	;; [unrolled: 1-line block ×6, first 2 shown]
	ds_load_b64 v[123:124], v130 offset:4344
.LBB0_15:
	s_wait_alu 0xfffe
	s_or_b32 exec_lo, exec_lo, s1
	s_wait_dscnt 0x6
	v_dual_add_f32 v139, v76, v78 :: v_dual_add_f32 v140, v77, v79
	s_wait_dscnt 0x0
	v_add_f32_e32 v141, v125, v78
	v_dual_sub_f32 v142, v79, v126 :: v_dual_add_f32 v143, v126, v79
	s_delay_alu instid0(VALU_DEP_3) | instskip(SKIP_1) | instid1(VALU_DEP_3)
	v_dual_add_f32 v139, v139, v68 :: v_dual_sub_f32 v144, v78, v125
	v_add_f32_e32 v140, v140, v69
	v_mul_f32_e32 v78, 0xbeedf032, v142
	global_wb scope:SCOPE_SE
	v_add_f32_e32 v79, v139, v70
	s_barrier_signal -1
	v_add_f32_e32 v139, v140, v71
	v_mul_f32_e32 v140, 0x3f62ad3f, v143
	s_delay_alu instid0(VALU_DEP_3) | instskip(SKIP_1) | instid1(VALU_DEP_4)
	v_dual_mul_f32 v146, 0x3f116cb1, v143 :: v_dual_add_f32 v79, v79, v60
	v_mul_f32_e32 v145, 0xbf52af12, v142
	v_dual_add_f32 v139, v139, v61 :: v_dual_mul_f32 v148, 0x3df6dbef, v143
	s_delay_alu instid0(VALU_DEP_3) | instskip(NEXT) | instid1(VALU_DEP_4)
	v_fmamk_f32 v153, v144, 0x3f52af12, v146
	v_dual_add_f32 v79, v79, v62 :: v_dual_fmamk_f32 v150, v141, 0x3f62ad3f, v78
	v_fmac_f32_e32 v146, 0xbf52af12, v144
	v_fma_f32 v78, 0x3f62ad3f, v141, -v78
	v_add_f32_e32 v139, v139, v63
	s_delay_alu instid0(VALU_DEP_4) | instskip(SKIP_3) | instid1(VALU_DEP_3)
	v_dual_add_f32 v79, v79, v56 :: v_dual_fmamk_f32 v152, v141, 0x3f116cb1, v145
	v_mul_f32_e32 v147, 0xbf7e222b, v142
	v_fma_f32 v145, 0x3f116cb1, v141, -v145
	s_barrier_wait -1
	v_add_f32_e32 v79, v79, v58
	global_inv scope:SCOPE_SE
	v_add_f32_e32 v156, v76, v78
	v_add_f32_e32 v150, v76, v150
	;; [unrolled: 1-line block ×3, first 2 shown]
	v_dual_add_f32 v79, v79, v64 :: v_dual_add_f32 v146, v77, v146
	v_sub_f32_e32 v162, v69, v75
	v_mul_f32_e32 v158, 0xbf3f9e67, v143
	v_sub_f32_e32 v68, v68, v74
	s_delay_alu instid0(VALU_DEP_4) | instskip(SKIP_1) | instid1(VALU_DEP_4)
	v_add_f32_e32 v79, v79, v66
	v_mul_f32_e32 v149, 0xbf6f5d39, v142
	v_dual_add_f32 v69, v75, v69 :: v_dual_fmamk_f32 v160, v144, 0x3f29c268, v158
	v_fmac_f32_e32 v158, 0xbf29c268, v144
	s_delay_alu instid0(VALU_DEP_4) | instskip(NEXT) | instid1(VALU_DEP_3)
	v_add_f32_e32 v78, v79, v72
	v_add_f32_e32 v160, v77, v160
	s_delay_alu instid0(VALU_DEP_3) | instskip(NEXT) | instid1(VALU_DEP_3)
	v_add_f32_e32 v158, v77, v158
	v_dual_add_f32 v78, v78, v74 :: v_dual_fmamk_f32 v151, v144, 0x3eedf032, v140
	v_fmac_f32_e32 v140, 0xbeedf032, v144
	v_fmamk_f32 v155, v144, 0x3f7e222b, v148
	v_fmac_f32_e32 v148, 0xbf7e222b, v144
	s_delay_alu instid0(VALU_DEP_4) | instskip(SKIP_2) | instid1(VALU_DEP_4)
	v_add_f32_e32 v78, v78, v125
	v_dual_add_f32 v139, v139, v57 :: v_dual_fmamk_f32 v154, v141, 0x3df6dbef, v147
	v_fmamk_f32 v125, v141, 0xbeb58ec6, v149
	v_add_f32_e32 v148, v77, v148
	v_fma_f32 v147, 0x3df6dbef, v141, -v147
	s_delay_alu instid0(VALU_DEP_4) | instskip(SKIP_2) | instid1(VALU_DEP_4)
	v_add_f32_e32 v139, v139, v59
	v_fma_f32 v149, 0xbeb58ec6, v141, -v149
	v_add_f32_e32 v125, v76, v125
	v_dual_mul_f32 v74, 0x3f116cb1, v69 :: v_dual_add_f32 v147, v76, v147
	s_delay_alu instid0(VALU_DEP_4) | instskip(NEXT) | instid1(VALU_DEP_4)
	v_add_f32_e32 v139, v139, v65
	v_add_f32_e32 v149, v76, v149
	s_delay_alu instid0(VALU_DEP_2) | instskip(NEXT) | instid1(VALU_DEP_1)
	v_add_f32_e32 v139, v139, v67
	v_add_f32_e32 v79, v139, v73
	;; [unrolled: 1-line block ×4, first 2 shown]
	v_dual_add_f32 v152, v77, v153 :: v_dual_add_f32 v153, v76, v154
	v_mul_f32_e32 v154, 0xbeb58ec6, v143
	v_add_f32_e32 v79, v79, v75
	v_mul_f32_e32 v143, 0xbf788fa5, v143
	v_add_f32_e32 v151, v77, v151
	v_mul_f32_e32 v165, 0xbf52af12, v162
	v_fmamk_f32 v157, v144, 0x3f6f5d39, v154
	v_dual_add_f32 v79, v79, v126 :: v_dual_add_f32 v126, v77, v155
	v_fmamk_f32 v163, v144, 0x3e750f2a, v143
	v_fmac_f32_e32 v143, 0xbe750f2a, v144
	v_mul_f32_e32 v155, 0xbf29c268, v142
	v_mul_f32_e32 v142, 0xbe750f2a, v142
	v_dual_fmac_f32 v154, 0xbf6f5d39, v144 :: v_dual_add_f32 v157, v77, v157
	v_mul_f32_e32 v144, 0xbeb58ec6, v69
	s_delay_alu instid0(VALU_DEP_4)
	v_fmamk_f32 v159, v141, 0xbf3f9e67, v155
	v_fma_f32 v155, 0xbf3f9e67, v141, -v155
	v_fmamk_f32 v161, v141, 0xbf788fa5, v142
	v_fma_f32 v75, 0xbf788fa5, v141, -v142
	v_fmamk_f32 v142, v68, 0x3f52af12, v74
	v_add_f32_e32 v159, v76, v159
	v_dual_add_f32 v155, v76, v155 :: v_dual_fmac_f32 v74, 0xbf52af12, v68
	v_dual_add_f32 v145, v76, v145 :: v_dual_add_f32 v154, v77, v154
	s_delay_alu instid0(VALU_DEP_4) | instskip(NEXT) | instid1(VALU_DEP_3)
	v_dual_add_f32 v142, v142, v151 :: v_dual_add_f32 v161, v76, v161
	v_dual_add_f32 v74, v74, v139 :: v_dual_fmamk_f32 v139, v68, 0x3f6f5d39, v144
	v_fmac_f32_e32 v144, 0xbf6f5d39, v68
	v_mul_f32_e32 v151, 0xbf788fa5, v69
	v_add_f32_e32 v163, v77, v163
	v_add_f32_e32 v75, v76, v75
	s_delay_alu instid0(VALU_DEP_4) | instskip(NEXT) | instid1(VALU_DEP_4)
	v_add_f32_e32 v144, v144, v146
	v_fmamk_f32 v146, v68, 0x3e750f2a, v151
	v_dual_fmamk_f32 v141, v164, 0x3f116cb1, v165 :: v_dual_add_f32 v76, v77, v143
	s_delay_alu instid0(VALU_DEP_2) | instskip(NEXT) | instid1(VALU_DEP_2)
	v_dual_fmac_f32 v151, 0xbe750f2a, v68 :: v_dual_add_f32 v126, v146, v126
	v_add_f32_e32 v77, v141, v150
	s_delay_alu instid0(VALU_DEP_2) | instskip(SKIP_1) | instid1(VALU_DEP_2)
	v_dual_mul_f32 v141, 0xbf6f5d39, v162 :: v_dual_add_f32 v148, v151, v148
	v_mul_f32_e32 v146, 0xbf3f9e67, v69
	v_fmamk_f32 v150, v164, 0xbeb58ec6, v141
	v_fma_f32 v141, 0xbeb58ec6, v164, -v141
	s_delay_alu instid0(VALU_DEP_3) | instskip(SKIP_1) | instid1(VALU_DEP_4)
	v_fmamk_f32 v151, v68, 0xbf29c268, v146
	v_fmac_f32_e32 v146, 0x3f29c268, v68
	v_add_f32_e32 v140, v150, v140
	s_delay_alu instid0(VALU_DEP_4) | instskip(NEXT) | instid1(VALU_DEP_3)
	v_dual_mul_f32 v150, 0xbe750f2a, v162 :: v_dual_add_f32 v141, v141, v145
	v_dual_add_f32 v146, v146, v154 :: v_dual_add_f32 v139, v139, v152
	s_delay_alu instid0(VALU_DEP_2) | instskip(SKIP_1) | instid1(VALU_DEP_2)
	v_fmamk_f32 v152, v164, 0xbf788fa5, v150
	v_fma_f32 v150, 0xbf788fa5, v164, -v150
	v_add_f32_e32 v152, v152, v153
	v_fma_f32 v143, 0x3f116cb1, v164, -v165
	s_delay_alu instid0(VALU_DEP_3) | instskip(NEXT) | instid1(VALU_DEP_1)
	v_dual_add_f32 v147, v150, v147 :: v_dual_mul_f32 v150, 0x3f7e222b, v162
	v_dual_add_f32 v143, v143, v156 :: v_dual_fmamk_f32 v156, v164, 0x3df6dbef, v150
	v_fma_f32 v150, 0x3df6dbef, v164, -v150
	s_delay_alu instid0(VALU_DEP_2) | instskip(NEXT) | instid1(VALU_DEP_1)
	v_dual_mul_f32 v145, 0x3f29c268, v162 :: v_dual_add_f32 v154, v156, v159
	v_dual_add_f32 v150, v150, v155 :: v_dual_fmamk_f32 v153, v164, 0xbf3f9e67, v145
	v_fma_f32 v145, 0xbf3f9e67, v164, -v145
	v_dual_mul_f32 v156, 0x3eedf032, v162 :: v_dual_sub_f32 v155, v71, v73
	v_add_f32_e32 v71, v73, v71
	s_delay_alu instid0(VALU_DEP_4)
	v_add_f32_e32 v125, v153, v125
	v_mul_f32_e32 v153, 0x3df6dbef, v69
	v_add_f32_e32 v145, v145, v149
	v_mul_f32_e32 v69, 0x3f62ad3f, v69
	v_fma_f32 v73, 0x3f62ad3f, v164, -v156
	v_add_f32_e32 v151, v151, v157
	v_fmamk_f32 v149, v68, 0xbf7e222b, v153
	v_fmac_f32_e32 v153, 0x3f7e222b, v68
	v_fmamk_f32 v157, v164, 0x3f62ad3f, v156
	v_fmamk_f32 v159, v68, 0xbeedf032, v69
	v_mul_f32_e32 v156, 0xbf788fa5, v71
	v_fmac_f32_e32 v69, 0x3eedf032, v68
	v_add_f32_e32 v73, v73, v75
	v_mul_f32_e32 v75, 0xbe750f2a, v155
	v_add_f32_e32 v153, v153, v158
	v_add_f32_e32 v158, v72, v70
	v_sub_f32_e32 v70, v70, v72
	v_dual_mul_f32 v72, 0x3df6dbef, v71 :: v_dual_add_f32 v69, v69, v76
	s_delay_alu instid0(VALU_DEP_1) | instskip(SKIP_2) | instid1(VALU_DEP_3)
	v_fmamk_f32 v76, v70, 0x3f7e222b, v72
	v_dual_fmac_f32 v72, 0xbf7e222b, v70 :: v_dual_add_f32 v149, v149, v160
	v_mul_f32_e32 v160, 0xbf7e222b, v155
	v_add_f32_e32 v76, v76, v142
	v_mul_f32_e32 v142, 0x3f6f5d39, v155
	s_delay_alu instid0(VALU_DEP_4) | instskip(NEXT) | instid1(VALU_DEP_4)
	v_add_f32_e32 v72, v72, v74
	v_fmamk_f32 v68, v158, 0x3df6dbef, v160
	v_fmamk_f32 v74, v70, 0x3e750f2a, v156
	v_fmac_f32_e32 v156, 0xbe750f2a, v70
	s_delay_alu instid0(VALU_DEP_3) | instskip(SKIP_4) | instid1(VALU_DEP_4)
	v_add_f32_e32 v68, v68, v77
	v_fma_f32 v77, 0x3df6dbef, v158, -v160
	v_fmamk_f32 v160, v158, 0xbf788fa5, v75
	v_fma_f32 v75, 0xbf788fa5, v158, -v75
	v_add_f32_e32 v74, v74, v139
	v_add_f32_e32 v77, v77, v143
	v_fmamk_f32 v143, v158, 0xbeb58ec6, v142
	v_fma_f32 v142, 0xbeb58ec6, v158, -v142
	v_add_f32_e32 v75, v75, v141
	v_dual_add_f32 v141, v156, v144 :: v_dual_mul_f32 v144, 0x3eedf032, v155
	s_delay_alu instid0(VALU_DEP_3) | instskip(SKIP_2) | instid1(VALU_DEP_4)
	v_dual_add_f32 v143, v143, v152 :: v_dual_add_f32 v142, v142, v147
	v_add_f32_e32 v159, v159, v163
	v_mul_f32_e32 v147, 0xbf52af12, v155
	v_fmamk_f32 v152, v158, 0x3f62ad3f, v144
	v_fma_f32 v144, 0x3f62ad3f, v158, -v144
	v_dual_mul_f32 v139, 0xbeb58ec6, v71 :: v_dual_add_f32 v140, v160, v140
	s_delay_alu instid0(VALU_DEP_3) | instskip(SKIP_1) | instid1(VALU_DEP_4)
	v_dual_fmamk_f32 v160, v158, 0x3f116cb1, v147 :: v_dual_add_f32 v125, v152, v125
	v_mul_f32_e32 v152, 0x3f116cb1, v71
	v_add_f32_e32 v144, v144, v145
	s_delay_alu instid0(VALU_DEP_4) | instskip(SKIP_2) | instid1(VALU_DEP_3)
	v_fmamk_f32 v156, v70, 0xbf6f5d39, v139
	v_fmac_f32_e32 v139, 0x3f6f5d39, v70
	v_fma_f32 v147, 0x3f116cb1, v158, -v147
	v_dual_fmamk_f32 v145, v70, 0x3f52af12, v152 :: v_dual_add_f32 v126, v156, v126
	v_dual_mul_f32 v156, 0x3f62ad3f, v71 :: v_dual_add_f32 v157, v157, v161
	v_fmac_f32_e32 v152, 0xbf52af12, v70
	s_delay_alu instid0(VALU_DEP_1)
	v_dual_mul_f32 v71, 0xbf3f9e67, v71 :: v_dual_add_f32 v152, v152, v153
	v_add_f32_e32 v153, v66, v60
	v_dual_add_f32 v147, v147, v150 :: v_dual_sub_f32 v150, v61, v67
	v_dual_add_f32 v139, v139, v148 :: v_dual_fmamk_f32 v148, v70, 0xbeedf032, v156
	v_dual_fmac_f32 v156, 0x3eedf032, v70 :: v_dual_add_f32 v145, v145, v149
	v_dual_add_f32 v61, v67, v61 :: v_dual_sub_f32 v60, v60, v66
	s_delay_alu instid0(VALU_DEP_3) | instskip(NEXT) | instid1(VALU_DEP_3)
	v_add_f32_e32 v148, v148, v151
	v_add_f32_e32 v146, v156, v146
	v_dual_add_f32 v151, v160, v154 :: v_dual_mul_f32 v154, 0xbf29c268, v155
	v_mul_f32_e32 v156, 0xbf6f5d39, v150
	v_fmamk_f32 v155, v70, 0x3f29c268, v71
	v_fmac_f32_e32 v71, 0xbf29c268, v70
	v_mul_f32_e32 v66, 0xbeb58ec6, v61
	v_fma_f32 v67, 0xbf3f9e67, v158, -v154
	v_fmamk_f32 v70, v153, 0xbeb58ec6, v156
	s_delay_alu instid0(VALU_DEP_1) | instskip(NEXT) | instid1(VALU_DEP_3)
	v_add_f32_e32 v68, v70, v68
	v_dual_mul_f32 v70, 0x3f29c268, v150 :: v_dual_add_f32 v67, v67, v73
	v_fma_f32 v73, 0xbeb58ec6, v153, -v156
	v_dual_fmamk_f32 v149, v158, 0xbf3f9e67, v154 :: v_dual_mul_f32 v154, 0xbf3f9e67, v61
	v_add_f32_e32 v155, v155, v159
	s_delay_alu instid0(VALU_DEP_4) | instskip(NEXT) | instid1(VALU_DEP_4)
	v_dual_add_f32 v69, v71, v69 :: v_dual_fmamk_f32 v156, v153, 0xbf3f9e67, v70
	v_add_f32_e32 v73, v73, v77
	v_mul_f32_e32 v77, 0x3eedf032, v150
	v_fma_f32 v70, 0xbf3f9e67, v153, -v70
	v_fmamk_f32 v71, v60, 0x3f6f5d39, v66
	v_dual_fmac_f32 v66, 0xbf6f5d39, v60 :: v_dual_add_f32 v149, v149, v157
	s_delay_alu instid0(VALU_DEP_3) | instskip(NEXT) | instid1(VALU_DEP_2)
	v_add_f32_e32 v70, v70, v75
	v_add_f32_e32 v66, v66, v72
	s_delay_alu instid0(VALU_DEP_4) | instskip(SKIP_2) | instid1(VALU_DEP_3)
	v_dual_fmamk_f32 v72, v60, 0xbf29c268, v154 :: v_dual_add_f32 v71, v71, v76
	v_add_f32_e32 v76, v156, v140
	v_fmamk_f32 v140, v153, 0x3f62ad3f, v77
	v_add_f32_e32 v72, v72, v74
	s_delay_alu instid0(VALU_DEP_2) | instskip(SKIP_1) | instid1(VALU_DEP_1)
	v_add_f32_e32 v140, v140, v143
	v_fma_f32 v77, 0x3f62ad3f, v153, -v77
	v_dual_fmac_f32 v154, 0x3f29c268, v60 :: v_dual_add_f32 v77, v77, v142
	s_delay_alu instid0(VALU_DEP_1) | instskip(SKIP_1) | instid1(VALU_DEP_1)
	v_add_f32_e32 v75, v154, v141
	v_mul_f32_e32 v141, 0xbf7e222b, v150
	v_fmamk_f32 v143, v153, 0x3df6dbef, v141
	v_fma_f32 v141, 0x3df6dbef, v153, -v141
	v_mul_f32_e32 v74, 0x3f62ad3f, v61
	s_delay_alu instid0(VALU_DEP_3) | instskip(NEXT) | instid1(VALU_DEP_2)
	v_add_f32_e32 v125, v143, v125
	v_dual_add_f32 v141, v141, v144 :: v_dual_fmamk_f32 v154, v60, 0xbeedf032, v74
	s_delay_alu instid0(VALU_DEP_1) | instskip(SKIP_2) | instid1(VALU_DEP_2)
	v_dual_mul_f32 v143, 0xbf788fa5, v61 :: v_dual_add_f32 v126, v154, v126
	v_mul_f32_e32 v154, 0x3df6dbef, v61
	v_mul_f32_e32 v61, 0x3f116cb1, v61
	v_fmamk_f32 v142, v60, 0x3f7e222b, v154
	v_fmac_f32_e32 v154, 0xbf7e222b, v60
	s_delay_alu instid0(VALU_DEP_2) | instskip(NEXT) | instid1(VALU_DEP_2)
	v_add_f32_e32 v142, v142, v148
	v_add_f32_e32 v144, v154, v146
	v_fmamk_f32 v146, v60, 0xbe750f2a, v143
	s_delay_alu instid0(VALU_DEP_1) | instskip(NEXT) | instid1(VALU_DEP_1)
	v_dual_fmac_f32 v74, 0x3eedf032, v60 :: v_dual_add_f32 v145, v146, v145
	v_dual_add_f32 v74, v74, v139 :: v_dual_mul_f32 v139, 0x3e750f2a, v150
	v_mul_f32_e32 v150, 0x3f52af12, v150
	s_delay_alu instid0(VALU_DEP_2) | instskip(SKIP_1) | instid1(VALU_DEP_2)
	v_fmamk_f32 v156, v153, 0xbf788fa5, v139
	v_fma_f32 v139, 0xbf788fa5, v153, -v139
	v_dual_fmac_f32 v143, 0x3e750f2a, v60 :: v_dual_add_f32 v148, v156, v151
	s_delay_alu instid0(VALU_DEP_2)
	v_add_f32_e32 v139, v139, v147
	v_sub_f32_e32 v147, v63, v65
	v_add_f32_e32 v63, v65, v63
	v_fmamk_f32 v146, v153, 0x3f116cb1, v150
	v_fmamk_f32 v151, v60, 0xbf52af12, v61
	v_add_f32_e32 v143, v143, v152
	v_fmac_f32_e32 v61, 0x3f52af12, v60
	v_mul_f32_e32 v152, 0xbf29c268, v147
	s_delay_alu instid0(VALU_DEP_4) | instskip(SKIP_1) | instid1(VALU_DEP_4)
	v_dual_add_f32 v146, v146, v149 :: v_dual_add_f32 v149, v151, v155
	v_add_f32_e32 v151, v64, v62
	v_add_f32_e32 v61, v61, v69
	v_fma_f32 v65, 0x3f116cb1, v153, -v150
	v_sub_f32_e32 v60, v62, v64
	s_delay_alu instid0(VALU_DEP_4) | instskip(NEXT) | instid1(VALU_DEP_3)
	v_fma_f32 v69, 0xbf3f9e67, v151, -v152
	v_dual_fmamk_f32 v62, v151, 0xbf3f9e67, v152 :: v_dual_add_f32 v65, v65, v67
	s_delay_alu instid0(VALU_DEP_2) | instskip(NEXT) | instid1(VALU_DEP_2)
	v_dual_mul_f32 v152, 0x3df6dbef, v63 :: v_dual_add_f32 v69, v69, v73
	v_dual_mul_f32 v67, 0x3f7e222b, v147 :: v_dual_add_f32 v62, v62, v68
	v_mul_f32_e32 v73, 0xbf52af12, v147
	s_delay_alu instid0(VALU_DEP_2) | instskip(SKIP_1) | instid1(VALU_DEP_1)
	v_fmamk_f32 v150, v151, 0x3df6dbef, v67
	v_fma_f32 v67, 0x3df6dbef, v151, -v67
	v_dual_mul_f32 v64, 0xbf3f9e67, v63 :: v_dual_add_f32 v67, v67, v70
	s_delay_alu instid0(VALU_DEP_1) | instskip(SKIP_1) | instid1(VALU_DEP_2)
	v_fmamk_f32 v68, v60, 0x3f29c268, v64
	v_fmac_f32_e32 v64, 0xbf29c268, v60
	v_add_f32_e32 v68, v68, v71
	s_delay_alu instid0(VALU_DEP_2) | instskip(SKIP_3) | instid1(VALU_DEP_3)
	v_add_f32_e32 v64, v64, v66
	v_dual_add_f32 v66, v150, v76 :: v_dual_fmamk_f32 v71, v60, 0xbf7e222b, v152
	v_fmac_f32_e32 v152, 0x3f7e222b, v60
	v_mul_f32_e32 v76, 0x3f116cb1, v63
	v_add_f32_e32 v150, v71, v72
	v_fmamk_f32 v71, v151, 0x3f116cb1, v73
	s_delay_alu instid0(VALU_DEP_3) | instskip(SKIP_1) | instid1(VALU_DEP_3)
	v_fmamk_f32 v72, v60, 0x3f52af12, v76
	v_fmac_f32_e32 v76, 0xbf52af12, v60
	v_add_f32_e32 v140, v71, v140
	v_fma_f32 v71, 0x3f116cb1, v151, -v73
	v_mul_f32_e32 v73, 0xbf788fa5, v63
	v_add_f32_e32 v70, v152, v75
	v_dual_mul_f32 v75, 0x3e750f2a, v147 :: v_dual_add_f32 v126, v72, v126
	s_delay_alu instid0(VALU_DEP_4) | instskip(SKIP_1) | instid1(VALU_DEP_3)
	v_add_f32_e32 v77, v71, v77
	v_dual_mul_f32 v71, 0x3eedf032, v147 :: v_dual_add_f32 v152, v76, v74
	v_fmamk_f32 v72, v151, 0xbf788fa5, v75
	v_fma_f32 v74, 0xbf788fa5, v151, -v75
	s_delay_alu instid0(VALU_DEP_3) | instskip(SKIP_1) | instid1(VALU_DEP_4)
	v_fmamk_f32 v75, v151, 0x3f62ad3f, v71
	v_fma_f32 v71, 0x3f62ad3f, v151, -v71
	v_add_f32_e32 v125, v72, v125
	v_fmamk_f32 v72, v60, 0xbe750f2a, v73
	v_fmac_f32_e32 v73, 0x3e750f2a, v60
	v_add_f32_e32 v141, v74, v141
	s_delay_alu instid0(VALU_DEP_2) | instskip(SKIP_4) | instid1(VALU_DEP_4)
	v_dual_add_f32 v139, v71, v139 :: v_dual_add_f32 v144, v73, v144
	v_mul_f32_e32 v73, 0xbf6f5d39, v147
	v_sub_f32_e32 v147, v57, v59
	v_dual_add_f32 v59, v59, v57 :: v_dual_add_f32 v142, v72, v142
	v_add_f32_e32 v156, v75, v148
	v_fma_f32 v71, 0xbeb58ec6, v151, -v73
	s_delay_alu instid0(VALU_DEP_4) | instskip(SKIP_2) | instid1(VALU_DEP_4)
	v_mul_f32_e32 v57, 0xbe750f2a, v147
	v_mul_f32_e32 v76, 0x3f62ad3f, v63
	v_dual_mul_f32 v63, 0xbeb58ec6, v63 :: v_dual_add_f32 v160, v58, v56
	v_dual_sub_f32 v58, v56, v58 :: v_dual_add_f32 v65, v71, v65
	s_delay_alu instid0(VALU_DEP_2) | instskip(SKIP_4) | instid1(VALU_DEP_4)
	v_fmamk_f32 v74, v60, 0x3f6f5d39, v63
	v_fmac_f32_e32 v63, 0xbf6f5d39, v60
	v_fmamk_f32 v72, v60, 0xbeedf032, v76
	v_fmac_f32_e32 v76, 0x3eedf032, v60
	v_mul_f32_e32 v60, 0xbf788fa5, v59
	v_dual_fmamk_f32 v56, v160, 0xbf788fa5, v57 :: v_dual_add_f32 v61, v63, v61
	s_delay_alu instid0(VALU_DEP_4) | instskip(SKIP_1) | instid1(VALU_DEP_3)
	v_dual_add_f32 v145, v72, v145 :: v_dual_fmamk_f32 v72, v151, 0xbeb58ec6, v73
	v_mul_f32_e32 v63, 0x3eedf032, v147
	v_add_f32_e32 v71, v56, v62
	v_add_f32_e32 v143, v76, v143
	s_delay_alu instid0(VALU_DEP_3)
	v_fmamk_f32 v62, v160, 0x3f62ad3f, v63
	v_fma_f32 v63, 0x3f62ad3f, v160, -v63
	v_add_f32_e32 v146, v72, v146
	v_fmamk_f32 v72, v58, 0x3e750f2a, v60
	v_fmac_f32_e32 v60, 0xbe750f2a, v58
	v_add_f32_e32 v73, v62, v66
	v_add_f32_e32 v75, v63, v67
	v_mul_f32_e32 v63, 0x3f52af12, v147
	v_fma_f32 v56, 0xbf788fa5, v160, -v57
	v_add_f32_e32 v57, v60, v64
	v_add_f32_e32 v72, v72, v68
	v_dual_mul_f32 v68, 0x3f62ad3f, v59 :: v_dual_add_f32 v161, v74, v149
	v_mul_f32_e32 v64, 0xbf3f9e67, v59
	v_mul_f32_e32 v60, 0xbf29c268, v147
	v_add_f32_e32 v56, v56, v69
	s_delay_alu instid0(VALU_DEP_4) | instskip(NEXT) | instid1(VALU_DEP_3)
	v_fmamk_f32 v62, v58, 0xbeedf032, v68
	v_fmamk_f32 v66, v160, 0xbf3f9e67, v60
	s_delay_alu instid0(VALU_DEP_2) | instskip(SKIP_1) | instid1(VALU_DEP_3)
	v_add_f32_e32 v74, v62, v150
	v_fmamk_f32 v62, v58, 0x3f29c268, v64
	v_add_f32_e32 v148, v66, v140
	s_delay_alu instid0(VALU_DEP_2) | instskip(SKIP_2) | instid1(VALU_DEP_2)
	v_dual_sub_f32 v140, v45, v51 :: v_dual_add_f32 v149, v62, v126
	v_mul_f32_e32 v62, 0x3f116cb1, v59
	v_sub_f32_e32 v126, v43, v37
	v_fmamk_f32 v66, v58, 0xbf52af12, v62
	s_delay_alu instid0(VALU_DEP_1) | instskip(SKIP_1) | instid1(VALU_DEP_2)
	v_dual_add_f32 v153, v66, v142 :: v_dual_mul_f32 v66, 0xbeb58ec6, v59
	v_dual_mul_f32 v59, 0x3df6dbef, v59 :: v_dual_add_f32 v142, v39, v41
	v_fmamk_f32 v67, v58, 0x3f6f5d39, v66
	s_delay_alu instid0(VALU_DEP_1) | instskip(SKIP_1) | instid1(VALU_DEP_2)
	v_dual_fmac_f32 v66, 0xbf6f5d39, v58 :: v_dual_add_f32 v157, v67, v145
	v_dual_sub_f32 v67, v42, v36 :: v_dual_fmac_f32 v62, 0x3f52af12, v58
	v_add_f32_e32 v159, v66, v143
	v_fmamk_f32 v66, v58, 0xbf7e222b, v59
	v_fma_f32 v60, 0xbf3f9e67, v160, -v60
	v_sub_f32_e32 v145, v53, v55
	v_dual_add_f32 v155, v62, v144 :: v_dual_fmac_f32 v68, 0x3eedf032, v58
	s_delay_alu instid0(VALU_DEP_4) | instskip(NEXT) | instid1(VALU_DEP_4)
	v_dual_add_f32 v161, v66, v161 :: v_dual_fmac_f32 v64, 0xbf29c268, v58
	v_add_f32_e32 v150, v60, v77
	v_fmamk_f32 v60, v160, 0x3f116cb1, v63
	s_delay_alu instid0(VALU_DEP_4) | instskip(SKIP_4) | instid1(VALU_DEP_4)
	v_add_f32_e32 v76, v68, v70
	v_fma_f32 v63, 0x3f116cb1, v160, -v63
	v_add_f32_e32 v151, v64, v152
	v_add_f32_e32 v64, v34, v32
	v_sub_f32_e32 v66, v40, v38
	v_dual_fmac_f32 v59, 0x3f7e222b, v58 :: v_dual_add_f32 v154, v63, v141
	v_dual_add_f32 v141, v37, v43 :: v_dual_add_f32 v152, v60, v125
	v_add_f32_e32 v60, v35, v33
	v_add_f32_e32 v64, v40, v64
	v_sub_f32_e32 v77, v35, v124
	v_dual_sub_f32 v125, v41, v39 :: v_dual_add_f32 v40, v38, v40
	s_delay_alu instid0(VALU_DEP_4) | instskip(NEXT) | instid1(VALU_DEP_4)
	v_add_f32_e32 v60, v41, v60
	v_dual_add_f32 v63, v42, v64 :: v_dual_mul_f32 v64, 0xbf6f5d39, v147
	v_mul_f32_e32 v41, 0xbf52af12, v66
	v_add_f32_e32 v42, v36, v42
	s_delay_alu instid0(VALU_DEP_4) | instskip(NEXT) | instid1(VALU_DEP_4)
	v_add_f32_e32 v60, v43, v60
	v_add_f32_e32 v62, v44, v63
	v_fmamk_f32 v63, v160, 0xbeb58ec6, v64
	v_fma_f32 v64, 0xbeb58ec6, v160, -v64
	v_fma_f32 v69, 0x3f116cb1, v142, -v41
	v_add_f32_e32 v60, v45, v60
	v_add_f32_e32 v144, v51, v45
	v_dual_add_f32 v156, v63, v156 :: v_dual_mul_f32 v63, 0x3f7e222b, v147
	v_dual_add_f32 v147, v55, v53 :: v_dual_add_f32 v62, v46, v62
	s_delay_alu instid0(VALU_DEP_4) | instskip(SKIP_1) | instid1(VALU_DEP_4)
	v_add_f32_e32 v60, v47, v60
	v_add_f32_e32 v158, v64, v139
	v_fmamk_f32 v64, v160, 0x3df6dbef, v63
	v_fma_f32 v63, 0x3df6dbef, v160, -v63
	v_add_f32_e32 v62, v52, v62
	v_dual_add_f32 v60, v53, v60 :: v_dual_add_f32 v139, v124, v35
	s_delay_alu instid0(VALU_DEP_4) | instskip(NEXT) | instid1(VALU_DEP_4)
	v_add_f32_e32 v160, v64, v146
	v_add_f32_e32 v162, v63, v65
	s_delay_alu instid0(VALU_DEP_4) | instskip(NEXT) | instid1(VALU_DEP_4)
	v_add_f32_e32 v62, v54, v62
	v_dual_add_f32 v60, v55, v60 :: v_dual_sub_f32 v65, v34, v123
	v_dual_add_f32 v64, v123, v34 :: v_dual_mul_f32 v43, 0xbf6f5d39, v140
	s_delay_alu instid0(VALU_DEP_3) | instskip(NEXT) | instid1(VALU_DEP_3)
	v_add_f32_e32 v62, v48, v62
	v_dual_add_f32 v60, v49, v60 :: v_dual_mul_f32 v63, 0xbeedf032, v65
	v_dual_sub_f32 v143, v47, v49 :: v_dual_add_f32 v146, v49, v47
	s_delay_alu instid0(VALU_DEP_3) | instskip(NEXT) | instid1(VALU_DEP_3)
	v_add_f32_e32 v62, v50, v62
	v_dual_add_f32 v58, v51, v60 :: v_dual_mul_f32 v49, 0xbe750f2a, v145
	s_delay_alu instid0(VALU_DEP_2) | instskip(SKIP_1) | instid1(VALU_DEP_3)
	v_add_f32_e32 v60, v36, v62
	v_mul_f32_e32 v62, 0xbeedf032, v77
	v_dual_add_f32 v34, v37, v58 :: v_dual_mul_f32 v37, 0xbf7e222b, v67
	s_delay_alu instid0(VALU_DEP_3) | instskip(NEXT) | instid1(VALU_DEP_3)
	v_dual_mul_f32 v36, 0xbf7e222b, v126 :: v_dual_add_f32 v35, v38, v60
	v_fmamk_f32 v58, v64, 0x3f62ad3f, v62
	v_fma_f32 v60, 0x3f62ad3f, v139, -v63
	v_mul_f32_e32 v38, 0xbf52af12, v125
	v_fma_f32 v70, 0x3df6dbef, v141, -v37
	v_add_f32_e32 v34, v39, v34
	v_add_f32_e32 v58, v32, v58
	;; [unrolled: 1-line block ×3, first 2 shown]
	v_fmamk_f32 v68, v40, 0x3f116cb1, v38
	s_delay_alu instid0(VALU_DEP_2) | instskip(NEXT) | instid1(VALU_DEP_2)
	v_add_f32_e32 v60, v69, v60
	v_add_f32_e32 v58, v68, v58
	v_dual_sub_f32 v68, v44, v50 :: v_dual_fmamk_f32 v69, v42, 0x3df6dbef, v36
	v_add_f32_e32 v44, v50, v44
	s_delay_alu instid0(VALU_DEP_4) | instskip(SKIP_1) | instid1(VALU_DEP_4)
	v_add_f32_e32 v51, v70, v60
	v_sub_f32_e32 v70, v46, v48
	v_dual_mul_f32 v45, 0xbf6f5d39, v68 :: v_dual_add_f32 v50, v69, v58
	s_delay_alu instid0(VALU_DEP_4) | instskip(SKIP_2) | instid1(VALU_DEP_4)
	v_fmamk_f32 v58, v44, 0xbeb58ec6, v43
	v_add_f32_e32 v48, v48, v46
	v_mul_f32_e32 v46, 0xbf29c268, v143
	v_fma_f32 v60, 0xbeb58ec6, v144, -v45
	v_mul_f32_e32 v47, 0xbf29c268, v70
	v_sub_f32_e32 v69, v52, v54
	s_delay_alu instid0(VALU_DEP_4) | instskip(NEXT) | instid1(VALU_DEP_4)
	v_dual_add_f32 v58, v58, v50 :: v_dual_fmamk_f32 v163, v48, 0xbf3f9e67, v46
	v_add_f32_e32 v60, v60, v51
	s_delay_alu instid0(VALU_DEP_4) | instskip(NEXT) | instid1(VALU_DEP_4)
	v_fma_f32 v164, 0xbf3f9e67, v146, -v47
	v_dual_add_f32 v50, v54, v52 :: v_dual_mul_f32 v51, 0xbe750f2a, v69
	s_delay_alu instid0(VALU_DEP_4) | instskip(SKIP_2) | instid1(VALU_DEP_4)
	v_add_f32_e32 v39, v163, v58
	v_add_f32_e32 v163, v59, v61
	;; [unrolled: 1-line block ×3, first 2 shown]
	v_dual_add_f32 v52, v164, v60 :: v_dual_fmamk_f32 v53, v50, 0xbf788fa5, v49
	v_fma_f32 v54, 0xbf788fa5, v147, -v51
	v_add_f32_e32 v58, v123, v35
	ds_store_2addr_b64 v138, v[78:79], v[71:72] offset1:1
	ds_store_2addr_b64 v138, v[73:74], v[148:149] offset0:2 offset1:3
	ds_store_2addr_b64 v138, v[152:153], v[156:157] offset0:4 offset1:5
	;; [unrolled: 1-line block ×5, first 2 shown]
	ds_store_b64 v138, v[56:57] offset:96
	v_dual_add_f32 v60, v53, v39 :: v_dual_add_f32 v61, v54, v52
	s_and_saveexec_b32 s1, vcc_lo
	s_cbranch_execz .LBB0_17
; %bb.16:
	v_dual_mul_f32 v148, 0xbf788fa5, v139 :: v_dual_mul_f32 v75, 0xbf788fa5, v50
	v_dual_mul_f32 v154, 0xbf29c268, v126 :: v_dual_mul_f32 v163, 0xbf29c268, v77
	;; [unrolled: 1-line block ×3, first 2 shown]
	s_delay_alu instid0(VALU_DEP_3) | instskip(SKIP_1) | instid1(VALU_DEP_3)
	v_dual_fmamk_f32 v34, v65, 0x3e750f2a, v148 :: v_dual_mul_f32 v169, 0x3e750f2a, v140
	v_mul_f32_e32 v53, 0xbeb58ec6, v44
	v_fmamk_f32 v194, v40, 0xbf788fa5, v192
	v_fmamk_f32 v124, v64, 0xbf3f9e67, v163
	v_mul_f32_e32 v149, 0x3f62ad3f, v142
	v_add_f32_e32 v34, v33, v34
	v_dual_mul_f32 v72, 0xbeb58ec6, v144 :: v_dual_mul_f32 v155, 0xbeb58ec6, v146
	s_delay_alu instid0(VALU_DEP_3) | instskip(SKIP_2) | instid1(VALU_DEP_3)
	v_dual_add_f32 v124, v32, v124 :: v_dual_fmamk_f32 v35, v66, 0xbeedf032, v149
	v_mul_f32_e32 v151, 0xbf3f9e67, v141
	v_dual_mul_f32 v152, 0x3eedf032, v125 :: v_dual_mul_f32 v171, 0x3eedf032, v143
	v_dual_mul_f32 v175, 0xbf6f5d39, v77 :: v_dual_add_f32 v34, v35, v34
	s_delay_alu instid0(VALU_DEP_3) | instskip(SKIP_2) | instid1(VALU_DEP_3)
	v_fmamk_f32 v35, v67, 0x3f29c268, v151
	v_dual_mul_f32 v153, 0x3f116cb1, v144 :: v_dual_mul_f32 v184, 0x3f116cb1, v147
	v_mul_f32_e32 v178, 0x3f29c268, v125
	v_dual_mul_f32 v199, 0xbf52af12, v143 :: v_dual_add_f32 v34, v35, v34
	s_delay_alu instid0(VALU_DEP_3)
	v_fmamk_f32 v35, v68, 0xbf52af12, v153
	v_fmamk_f32 v79, v40, 0x3f62ad3f, v152
	;; [unrolled: 1-line block ×4, first 2 shown]
	v_mul_f32_e32 v160, 0xbf788fa5, v147
	v_dual_add_f32 v34, v35, v34 :: v_dual_fmamk_f32 v35, v70, 0x3f6f5d39, v155
	v_mul_f32_e32 v157, 0x3df6dbef, v147
	s_delay_alu instid0(VALU_DEP_4) | instskip(SKIP_2) | instid1(VALU_DEP_4)
	v_add_f32_e32 v177, v32, v177
	v_fmamk_f32 v180, v40, 0xbf3f9e67, v178
	v_mul_f32_e32 v181, 0x3eedf032, v126
	v_dual_add_f32 v34, v35, v34 :: v_dual_fmamk_f32 v35, v69, 0xbf7e222b, v157
	v_mul_f32_e32 v150, 0xbe750f2a, v77
	s_delay_alu instid0(VALU_DEP_4) | instskip(NEXT) | instid1(VALU_DEP_3)
	v_dual_mul_f32 v166, 0xbf788fa5, v144 :: v_dual_add_f32 v177, v180, v177
	v_dual_fmamk_f32 v180, v42, 0x3f62ad3f, v181 :: v_dual_add_f32 v35, v35, v34
	s_delay_alu instid0(VALU_DEP_3) | instskip(SKIP_2) | instid1(VALU_DEP_4)
	v_fmamk_f32 v78, v64, 0xbf788fa5, v150
	v_mul_f32_e32 v183, 0xbf7e222b, v140
	v_mul_f32_e32 v165, 0x3f7e222b, v125
	v_dual_mul_f32 v168, 0x3f62ad3f, v146 :: v_dual_add_f32 v177, v180, v177
	s_delay_alu instid0(VALU_DEP_4) | instskip(NEXT) | instid1(VALU_DEP_4)
	v_add_f32_e32 v78, v32, v78
	v_dual_fmamk_f32 v180, v44, 0x3df6dbef, v183 :: v_dual_mul_f32 v187, 0x3df6dbef, v139
	v_mul_f32_e32 v162, 0x3f7e222b, v145
	v_dual_mul_f32 v161, 0x3df6dbef, v142 :: v_dual_fmamk_f32 v138, v40, 0x3df6dbef, v165
	s_delay_alu instid0(VALU_DEP_4)
	v_add_f32_e32 v78, v79, v78
	v_mul_f32_e32 v164, 0x3f116cb1, v141
	v_mul_f32_e32 v156, 0x3f52af12, v140
	v_fmamk_f32 v123, v50, 0x3df6dbef, v162
	v_fmamk_f32 v79, v42, 0xbf3f9e67, v154
	v_dual_add_f32 v124, v138, v124 :: v_dual_mul_f32 v167, 0xbf52af12, v126
	v_add_f32_e32 v177, v180, v177
	s_delay_alu instid0(VALU_DEP_3) | instskip(NEXT) | instid1(VALU_DEP_3)
	v_dual_mul_f32 v193, 0x3f62ad3f, v144 :: v_dual_add_f32 v78, v79, v78
	v_dual_fmamk_f32 v79, v44, 0x3f116cb1, v156 :: v_dual_fmamk_f32 v138, v42, 0x3f116cb1, v167
	v_mul_f32_e32 v198, 0xbf3f9e67, v147
	v_mul_f32_e32 v170, 0xbeb58ec6, v147
	;; [unrolled: 1-line block ×3, first 2 shown]
	s_delay_alu instid0(VALU_DEP_4)
	v_add_f32_e32 v78, v79, v78
	v_add_f32_e32 v124, v138, v124
	v_fmamk_f32 v138, v44, 0xbf788fa5, v169
	v_mul_f32_e32 v173, 0xbeb58ec6, v139
	v_fmamk_f32 v172, v69, 0x3f6f5d39, v170
	v_fmamk_f32 v200, v69, 0x3f29c268, v198
	v_mul_f32_e32 v182, 0xbf788fa5, v146
	v_add_f32_e32 v124, v138, v124
	v_fmamk_f32 v138, v48, 0x3f62ad3f, v171
	v_mul_f32_e32 v158, 0xbf6f5d39, v143
	v_mul_f32_e32 v174, 0xbf6f5d39, v145
	v_fmac_f32_e32 v170, 0xbf6f5d39, v69
	v_mul_f32_e32 v197, 0x3eedf032, v140
	v_fmac_f32_e32 v157, 0x3f7e222b, v69
	v_fmamk_f32 v79, v48, 0xbeb58ec6, v158
	v_mul_f32_e32 v159, 0xbf3f9e67, v139
	v_dual_mul_f32 v71, 0x3f62ad3f, v64 :: v_dual_mul_f32 v76, 0x3f62ad3f, v139
	v_dual_mul_f32 v39, 0x3f116cb1, v40 :: v_dual_mul_f32 v54, 0x3f116cb1, v142
	s_delay_alu instid0(VALU_DEP_4) | instskip(NEXT) | instid1(VALU_DEP_4)
	v_add_f32_e32 v78, v79, v78
	v_fmamk_f32 v34, v65, 0x3f29c268, v159
	v_fmamk_f32 v79, v66, 0xbf7e222b, v161
	v_fmac_f32_e32 v159, 0xbf29c268, v65
	v_dual_mul_f32 v73, 0x3df6dbef, v42 :: v_dual_mul_f32 v74, 0x3df6dbef, v141
	s_delay_alu instid0(VALU_DEP_4) | instskip(SKIP_3) | instid1(VALU_DEP_4)
	v_add_f32_e32 v34, v33, v34
	v_dual_mul_f32 v202, 0xbf6f5d39, v125 :: v_dual_fmac_f32 v155, 0xbf6f5d39, v70
	v_mul_f32_e32 v189, 0xbeb58ec6, v141
	v_dual_mul_f32 v52, 0xbf3f9e67, v48 :: v_dual_mul_f32 v55, 0xbf3f9e67, v146
	v_add_f32_e32 v34, v79, v34
	v_fmamk_f32 v79, v67, 0x3f52af12, v164
	v_dual_mul_f32 v204, 0x3f7e222b, v143 :: v_dual_fmac_f32 v161, 0x3f7e222b, v66
	v_mul_f32_e32 v147, 0x3f62ad3f, v147
	v_fmac_f32_e32 v148, 0xbe750f2a, v65
	s_delay_alu instid0(VALU_DEP_4) | instskip(SKIP_3) | instid1(VALU_DEP_4)
	v_dual_add_f32 v34, v79, v34 :: v_dual_fmamk_f32 v79, v68, 0xbe750f2a, v166
	v_sub_f32_e32 v62, v71, v62
	v_sub_f32_e32 v38, v39, v38
	v_dual_sub_f32 v36, v73, v36 :: v_dual_mul_f32 v201, 0x3f116cb1, v139
	v_dual_add_f32 v34, v79, v34 :: v_dual_fmamk_f32 v79, v70, 0xbeedf032, v168
	v_fmac_f32_e32 v168, 0x3eedf032, v70
	v_fmac_f32_e32 v151, 0xbf29c268, v67
	v_add_f32_e32 v63, v63, v76
	v_fmac_f32_e32 v149, 0x3eedf032, v66
	v_add_f32_e32 v79, v79, v34
	v_add_f32_e32 v34, v123, v78
	v_dual_fmamk_f32 v78, v65, 0x3f6f5d39, v173 :: v_dual_add_f32 v123, v138, v124
	s_delay_alu instid0(VALU_DEP_3) | instskip(SKIP_1) | instid1(VALU_DEP_3)
	v_dual_fmamk_f32 v138, v50, 0xbeb58ec6, v174 :: v_dual_add_f32 v79, v172, v79
	v_mul_f32_e32 v172, 0xbf3f9e67, v142
	v_add_f32_e32 v78, v33, v78
	v_add_f32_e32 v41, v41, v54
	s_delay_alu instid0(VALU_DEP_3) | instskip(NEXT) | instid1(VALU_DEP_1)
	v_dual_add_f32 v37, v37, v74 :: v_dual_fmamk_f32 v124, v66, 0xbf29c268, v172
	v_add_f32_e32 v78, v124, v78
	v_fmamk_f32 v124, v67, 0xbeedf032, v176
	s_delay_alu instid0(VALU_DEP_1) | instskip(NEXT) | instid1(VALU_DEP_1)
	v_dual_mul_f32 v179, 0x3df6dbef, v144 :: v_dual_add_f32 v78, v124, v78
	v_fmamk_f32 v124, v68, 0x3f7e222b, v179
	s_delay_alu instid0(VALU_DEP_1) | instskip(SKIP_1) | instid1(VALU_DEP_1)
	v_dual_fmac_f32 v179, 0xbf7e222b, v68 :: v_dual_add_f32 v78, v124, v78
	v_fmamk_f32 v124, v70, 0xbe750f2a, v182
	v_dual_mul_f32 v185, 0x3e750f2a, v143 :: v_dual_add_f32 v124, v124, v78
	v_dual_add_f32 v78, v138, v123 :: v_dual_fmamk_f32 v123, v65, 0x3f7e222b, v187
	s_delay_alu instid0(VALU_DEP_2) | instskip(NEXT) | instid1(VALU_DEP_3)
	v_fmamk_f32 v180, v48, 0xbf788fa5, v185
	v_dual_fmac_f32 v187, 0xbf7e222b, v65 :: v_dual_add_f32 v124, v186, v124
	s_delay_alu instid0(VALU_DEP_3) | instskip(NEXT) | instid1(VALU_DEP_3)
	v_dual_mul_f32 v186, 0xbf788fa5, v142 :: v_dual_add_f32 v123, v33, v123
	v_add_f32_e32 v138, v180, v177
	v_fmac_f32_e32 v164, 0xbf52af12, v67
	v_mul_f32_e32 v196, 0x3f116cb1, v146
	s_delay_alu instid0(VALU_DEP_4) | instskip(SKIP_3) | instid1(VALU_DEP_4)
	v_fmamk_f32 v188, v66, 0x3e750f2a, v186
	v_mul_f32_e32 v177, 0x3f52af12, v145
	v_mul_f32_e32 v180, 0xbf7e222b, v77
	;; [unrolled: 1-line block ×3, first 2 shown]
	v_dual_mul_f32 v146, 0x3df6dbef, v146 :: v_dual_add_f32 v123, v188, v123
	v_fmamk_f32 v188, v67, 0xbf6f5d39, v189
	v_fmac_f32_e32 v189, 0x3f6f5d39, v67
	s_delay_alu instid0(VALU_DEP_2) | instskip(SKIP_3) | instid1(VALU_DEP_3)
	v_add_f32_e32 v123, v188, v123
	v_fmamk_f32 v188, v68, 0xbeedf032, v193
	v_fmac_f32_e32 v193, 0x3eedf032, v68
	v_fmac_f32_e32 v173, 0xbf6f5d39, v65
	v_dual_fmac_f32 v172, 0x3f29c268, v66 :: v_dual_add_f32 v123, v188, v123
	v_fmamk_f32 v188, v70, 0x3f52af12, v196
	v_fmamk_f32 v190, v50, 0x3f116cb1, v177
	s_delay_alu instid0(VALU_DEP_2) | instskip(NEXT) | instid1(VALU_DEP_2)
	v_dual_mul_f32 v195, 0x3f6f5d39, v126 :: v_dual_add_f32 v188, v188, v123
	v_dual_add_f32 v123, v190, v138 :: v_dual_fmamk_f32 v138, v65, 0x3f52af12, v201
	v_fmamk_f32 v191, v64, 0x3df6dbef, v180
	v_fmac_f32_e32 v201, 0xbf52af12, v65
	v_fmac_f32_e32 v166, 0x3e750f2a, v68
	s_delay_alu instid0(VALU_DEP_4) | instskip(NEXT) | instid1(VALU_DEP_4)
	v_dual_add_f32 v139, v200, v188 :: v_dual_add_f32 v138, v33, v138
	v_dual_add_f32 v191, v32, v191 :: v_dual_mul_f32 v188, 0xbeb58ec6, v142
	v_mul_f32_e32 v190, 0xbf29c268, v145
	s_delay_alu instid0(VALU_DEP_2) | instskip(SKIP_1) | instid1(VALU_DEP_1)
	v_dual_fmamk_f32 v200, v64, 0x3f116cb1, v77 :: v_dual_add_f32 v191, v194, v191
	v_fmamk_f32 v194, v42, 0xbeb58ec6, v195
	v_dual_add_f32 v191, v194, v191 :: v_dual_fmamk_f32 v194, v44, 0x3f62ad3f, v197
	s_delay_alu instid0(VALU_DEP_1) | instskip(SKIP_1) | instid1(VALU_DEP_2)
	v_dual_add_f32 v191, v194, v191 :: v_dual_fmamk_f32 v194, v48, 0x3f116cb1, v199
	v_fmac_f32_e32 v176, 0x3eedf032, v67
	v_add_f32_e32 v142, v194, v191
	v_mul_f32_e32 v194, 0xbf788fa5, v141
	v_fmamk_f32 v141, v50, 0xbf3f9e67, v190
	v_fmamk_f32 v191, v66, 0x3f6f5d39, v188
	s_delay_alu instid0(VALU_DEP_1) | instskip(NEXT) | instid1(VALU_DEP_4)
	v_dual_fmac_f32 v198, 0xbf29c268, v69 :: v_dual_add_f32 v125, v191, v138
	v_dual_fmamk_f32 v138, v67, 0x3e750f2a, v194 :: v_dual_add_f32 v191, v32, v200
	s_delay_alu instid0(VALU_DEP_1) | instskip(NEXT) | instid1(VALU_DEP_1)
	v_dual_fmamk_f32 v200, v40, 0xbeb58ec6, v202 :: v_dual_add_f32 v125, v138, v125
	v_dual_add_f32 v138, v200, v191 :: v_dual_fmamk_f32 v191, v42, 0xbf788fa5, v203
	v_mul_f32_e32 v200, 0x3f29c268, v140
	v_mul_f32_e32 v144, 0xbf3f9e67, v144
	v_fmac_f32_e32 v182, 0x3e750f2a, v70
	s_delay_alu instid0(VALU_DEP_3) | instskip(NEXT) | instid1(VALU_DEP_3)
	v_dual_add_f32 v140, v191, v138 :: v_dual_fmamk_f32 v191, v44, 0xbf3f9e67, v200
	v_fmamk_f32 v126, v68, 0xbf29c268, v144
	v_dual_add_f32 v138, v141, v142 :: v_dual_fmamk_f32 v141, v48, 0x3df6dbef, v204
	v_add_f32_e32 v142, v33, v148
	s_delay_alu instid0(VALU_DEP_3) | instskip(SKIP_3) | instid1(VALU_DEP_4)
	v_dual_add_f32 v140, v191, v140 :: v_dual_add_f32 v125, v126, v125
	v_fmamk_f32 v126, v70, 0xbf7e222b, v146
	v_mul_f32_e32 v191, 0x3eedf032, v145
	v_fma_f32 v145, 0x3f62ad3f, v40, -v152
	v_add_f32_e32 v140, v141, v140
	v_fmac_f32_e32 v184, 0x3f52af12, v69
	v_dual_add_f32 v125, v126, v125 :: v_dual_fmamk_f32 v126, v69, 0xbeedf032, v147
	v_fmamk_f32 v141, v50, 0x3f62ad3f, v191
	v_fma_f32 v148, 0xbf3f9e67, v64, -v163
	v_fmac_f32_e32 v146, 0x3f7e222b, v70
	v_fmac_f32_e32 v147, 0x3eedf032, v69
	v_add_f32_e32 v126, v126, v125
	v_fma_f32 v125, 0xbf788fa5, v64, -v150
	v_fma_f32 v150, 0xbf3f9e67, v40, -v178
	v_fmac_f32_e32 v144, 0x3f29c268, v68
	v_fma_f32 v152, 0x3f116cb1, v50, -v177
	s_delay_alu instid0(VALU_DEP_4)
	v_add_f32_e32 v143, v32, v125
	v_add_f32_e32 v125, v141, v140
	v_add_f32_e32 v140, v149, v142
	v_add_f32_e32 v149, v33, v173
	v_fma_f32 v142, 0xbf3f9e67, v42, -v154
	v_add_f32_e32 v141, v145, v143
	v_add_f32_e32 v143, v33, v159
	v_fma_f32 v145, 0x3df6dbef, v50, -v162
	v_add_f32_e32 v149, v172, v149
	s_delay_alu instid0(VALU_DEP_4) | instskip(SKIP_2) | instid1(VALU_DEP_4)
	v_add_f32_e32 v141, v142, v141
	v_fma_f32 v142, 0x3f116cb1, v44, -v156
	v_add_f32_e32 v143, v161, v143
	v_add_f32_e32 v149, v176, v149
	s_delay_alu instid0(VALU_DEP_3) | instskip(SKIP_1) | instid1(VALU_DEP_3)
	v_add_f32_e32 v141, v142, v141
	v_fma_f32 v142, 0xbeb58ec6, v48, -v158
	v_add_f32_e32 v149, v179, v149
	v_fmac_f32_e32 v153, 0x3f52af12, v68
	v_dual_add_f32 v143, v164, v143 :: v_dual_fmac_f32 v196, 0xbf52af12, v70
	s_delay_alu instid0(VALU_DEP_4) | instskip(NEXT) | instid1(VALU_DEP_4)
	v_add_f32_e32 v142, v142, v141
	v_dual_add_f32 v149, v182, v149 :: v_dual_add_f32 v140, v151, v140
	s_delay_alu instid0(VALU_DEP_3) | instskip(SKIP_2) | instid1(VALU_DEP_4)
	v_add_f32_e32 v143, v166, v143
	v_fma_f32 v151, 0xbf788fa5, v48, -v185
	v_fma_f32 v68, 0xbf3f9e67, v50, -v190
	v_add_f32_e32 v140, v153, v140
	s_delay_alu instid0(VALU_DEP_1) | instskip(NEXT) | instid1(VALU_DEP_1)
	v_add_f32_e32 v140, v155, v140
	v_add_f32_e32 v141, v157, v140
	;; [unrolled: 1-line block ×5, first 2 shown]
	v_fma_f32 v148, 0x3df6dbef, v40, -v165
	s_delay_alu instid0(VALU_DEP_3) | instskip(SKIP_1) | instid1(VALU_DEP_3)
	v_add_f32_e32 v143, v170, v142
	v_fma_f32 v142, 0xbeb58ec6, v64, -v175
	v_add_f32_e32 v145, v148, v145
	v_fma_f32 v148, 0x3f116cb1, v42, -v167
	v_fmac_f32_e32 v188, 0xbf6f5d39, v66
	s_delay_alu instid0(VALU_DEP_4) | instskip(NEXT) | instid1(VALU_DEP_3)
	v_add_f32_e32 v142, v32, v142
	v_add_f32_e32 v145, v148, v145
	v_fma_f32 v148, 0xbf788fa5, v44, -v169
	s_delay_alu instid0(VALU_DEP_3) | instskip(SKIP_1) | instid1(VALU_DEP_3)
	v_add_f32_e32 v142, v150, v142
	v_fma_f32 v150, 0x3f62ad3f, v42, -v181
	v_add_f32_e32 v145, v148, v145
	v_fma_f32 v148, 0x3f62ad3f, v48, -v171
	s_delay_alu instid0(VALU_DEP_3) | instskip(SKIP_1) | instid1(VALU_DEP_3)
	v_add_f32_e32 v142, v150, v142
	v_fma_f32 v150, 0x3df6dbef, v44, -v183
	v_add_f32_e32 v145, v148, v145
	v_fma_f32 v148, 0xbeb58ec6, v50, -v174
	s_delay_alu instid0(VALU_DEP_3) | instskip(NEXT) | instid1(VALU_DEP_2)
	v_add_f32_e32 v150, v150, v142
	v_add_f32_e32 v142, v148, v145
	v_fma_f32 v148, 0x3df6dbef, v64, -v180
	v_add_f32_e32 v145, v184, v149
	s_delay_alu instid0(VALU_DEP_4)
	v_add_f32_e32 v149, v151, v150
	v_fma_f32 v151, 0xbf788fa5, v40, -v192
	v_add_f32_e32 v150, v33, v187
	v_add_f32_e32 v148, v32, v148
	v_fma_f32 v64, 0x3f116cb1, v64, -v77
	v_fma_f32 v40, 0xbeb58ec6, v40, -v202
	s_delay_alu instid0(VALU_DEP_3) | instskip(SKIP_1) | instid1(VALU_DEP_4)
	v_dual_add_f32 v148, v151, v148 :: v_dual_add_f32 v151, v33, v201
	v_dual_add_f32 v33, v33, v63 :: v_dual_fmac_f32 v186, 0xbe750f2a, v66
	v_add_f32_e32 v64, v32, v64
	s_delay_alu instid0(VALU_DEP_2) | instskip(SKIP_1) | instid1(VALU_DEP_4)
	v_dual_add_f32 v32, v32, v62 :: v_dual_add_f32 v33, v41, v33
	v_sub_f32_e32 v41, v75, v49
	v_add_f32_e32 v65, v186, v150
	v_fma_f32 v150, 0xbeb58ec6, v42, -v195
	v_add_f32_e32 v39, v40, v64
	v_add_f32_e32 v33, v37, v33
	;; [unrolled: 1-line block ×3, first 2 shown]
	v_fma_f32 v40, 0xbf788fa5, v42, -v203
	v_dual_add_f32 v66, v150, v148 :: v_dual_add_f32 v65, v189, v65
	v_fma_f32 v148, 0x3f62ad3f, v44, -v197
	s_delay_alu instid0(VALU_DEP_4) | instskip(SKIP_4) | instid1(VALU_DEP_4)
	v_add_f32_e32 v33, v37, v33
	v_add_f32_e32 v37, v47, v55
	v_add_f32_e32 v150, v188, v151
	v_add_f32_e32 v32, v38, v32
	v_add_f32_e32 v38, v40, v39
	v_dual_add_f32 v40, v51, v160 :: v_dual_add_f32 v37, v37, v33
	v_dual_fmac_f32 v194, 0xbe750f2a, v67 :: v_dual_add_f32 v65, v193, v65
	v_add_f32_e32 v66, v148, v66
	v_fma_f32 v67, 0x3f116cb1, v48, -v199
	v_fma_f32 v39, 0xbf3f9e67, v44, -v200
	v_add_f32_e32 v32, v36, v32
	v_dual_sub_f32 v36, v53, v43 :: v_dual_add_f32 v37, v40, v37
	v_dual_add_f32 v148, v194, v150 :: v_dual_add_f32 v65, v196, v65
	v_add_f32_e32 v67, v67, v66
	v_add_f32_e32 v38, v39, v38
	v_fma_f32 v39, 0x3df6dbef, v48, -v204
	s_delay_alu instid0(VALU_DEP_4) | instskip(SKIP_3) | instid1(VALU_DEP_4)
	v_add_f32_e32 v148, v144, v148
	v_add_f32_e32 v32, v36, v32
	v_sub_f32_e32 v36, v52, v46
	v_dual_add_f32 v66, v198, v65 :: v_dual_add_f32 v65, v68, v67
	v_dual_add_f32 v67, v146, v148 :: v_dual_add_f32 v38, v39, v38
	v_fma_f32 v39, 0x3f62ad3f, v50, -v191
	s_delay_alu instid0(VALU_DEP_4) | instskip(SKIP_1) | instid1(VALU_DEP_4)
	v_add_f32_e32 v36, v36, v32
	v_lshl_add_u32 v42, v132, 3, v129
	v_dual_add_f32 v33, v147, v67 :: v_dual_add_f32 v144, v152, v149
	s_delay_alu instid0(VALU_DEP_4) | instskip(NEXT) | instid1(VALU_DEP_4)
	v_add_f32_e32 v32, v39, v38
	v_add_f32_e32 v36, v41, v36
	ds_store_2addr_b64 v42, v[58:59], v[60:61] offset1:1
	ds_store_2addr_b64 v42, v[125:126], v[138:139] offset0:2 offset1:3
	ds_store_2addr_b64 v42, v[123:124], v[78:79] offset0:4 offset1:5
	;; [unrolled: 1-line block ×5, first 2 shown]
	ds_store_b64 v42, v[36:37] offset:96
.LBB0_17:
	s_wait_alu 0xfffe
	s_or_b32 exec_lo, exec_lo, s1
	v_add_nc_u32_e32 v40, 0x800, v127
	global_wb scope:SCOPE_SE
	s_wait_dscnt 0x0
	s_barrier_signal -1
	s_barrier_wait -1
	global_inv scope:SCOPE_SE
	ds_load_2addr_b64 v[36:39], v127 offset1:39
	ds_load_2addr_b64 v[52:55], v127 offset0:182 offset1:221
	ds_load_2addr_b64 v[48:51], v40 offset0:108 offset1:147
	;; [unrolled: 1-line block ×5, first 2 shown]
	s_and_saveexec_b32 s1, s0
	s_cbranch_execz .LBB0_19
; %bb.18:
	v_add_nc_u32_e32 v56, 0x400, v127
	ds_load_2addr_b64 v[56:59], v56 offset0:28 offset1:210
	ds_load_b64 v[60:61], v127 offset:4160
.LBB0_19:
	s_wait_alu 0xfffe
	s_or_b32 exec_lo, exec_lo, s1
	s_wait_dscnt 0x4
	v_dual_mul_f32 v63, v25, v53 :: v_dual_add_nc_u32 v62, 0x618, v127
	s_wait_dscnt 0x3
	v_dual_mul_f32 v65, v27, v49 :: v_dual_mul_f32 v64, v25, v52
	v_add_nc_u32_e32 v25, 0x750, v127
	s_delay_alu instid0(VALU_DEP_3)
	v_dual_fmac_f32 v63, v24, v52 :: v_dual_mul_f32 v52, v13, v55
	v_mul_f32_e32 v27, v27, v48
	s_wait_dscnt 0x1
	v_dual_fmac_f32 v65, v26, v48 :: v_dual_mul_f32 v48, v9, v45
	v_mul_f32_e32 v13, v13, v54
	v_fmac_f32_e32 v52, v12, v54
	v_fma_f32 v26, v26, v49, -v27
	v_mul_f32_e32 v9, v9, v44
	v_fmac_f32_e32 v48, v8, v44
	v_mul_f32_e32 v44, v5, v47
	v_mul_f32_e32 v27, v15, v51
	;; [unrolled: 1-line block ×4, first 2 shown]
	v_fma_f32 v24, v24, v53, -v64
	v_fma_f32 v12, v12, v55, -v13
	v_fmac_f32_e32 v44, v4, v46
	v_fmac_f32_e32 v27, v14, v50
	v_fma_f32 v13, v14, v51, -v15
	v_fma_f32 v15, v8, v45, -v9
	v_add_f32_e32 v14, v38, v52
	v_fma_f32 v45, v4, v47, -v5
	v_add_f32_e32 v4, v63, v65
	s_wait_dscnt 0x0
	v_mul_f32_e32 v49, v11, v41
	v_sub_f32_e32 v9, v24, v26
	global_wb scope:SCOPE_SE
	s_barrier_signal -1
	v_fma_f32 v4, -0.5, v4, v36
	v_mul_f32_e32 v11, v11, v40
	v_fmac_f32_e32 v49, v10, v40
	s_barrier_wait -1
	global_inv scope:SCOPE_SE
	v_fmamk_f32 v8, v9, 0xbf5db3d7, v4
	v_fmac_f32_e32 v4, 0x3f5db3d7, v9
	v_fma_f32 v40, v10, v41, -v11
	v_mul_f32_e32 v41, v7, v43
	v_dual_mul_f32 v7, v7, v42 :: v_dual_add_f32 v10, v37, v24
	v_sub_f32_e32 v11, v63, v65
	s_delay_alu instid0(VALU_DEP_3) | instskip(NEXT) | instid1(VALU_DEP_3)
	v_fmac_f32_e32 v41, v6, v42
	v_fma_f32 v42, v6, v43, -v7
	v_add_f32_e32 v7, v24, v26
	v_sub_f32_e32 v24, v12, v13
	v_dual_add_f32 v5, v36, v63 :: v_dual_sub_f32 v36, v15, v40
	v_add_f32_e32 v43, v35, v45
	s_delay_alu instid0(VALU_DEP_2) | instskip(SKIP_4) | instid1(VALU_DEP_4)
	v_add_f32_e32 v6, v5, v65
	v_fma_f32 v5, -0.5, v7, v37
	v_dual_add_f32 v7, v10, v26 :: v_dual_add_f32 v10, v52, v27
	v_sub_f32_e32 v26, v52, v27
	v_sub_f32_e32 v37, v48, v49
	v_fmamk_f32 v9, v11, 0x3f5db3d7, v5
	v_fmac_f32_e32 v5, 0xbf5db3d7, v11
	v_add_f32_e32 v11, v12, v13
	v_fma_f32 v38, -0.5, v10, v38
	v_add_f32_e32 v10, v14, v27
	v_add_f32_e32 v14, v39, v12
	s_delay_alu instid0(VALU_DEP_3) | instskip(SKIP_2) | instid1(VALU_DEP_4)
	v_dual_add_f32 v27, v15, v40 :: v_dual_fmamk_f32 v12, v24, 0xbf5db3d7, v38
	v_fmac_f32_e32 v38, 0x3f5db3d7, v24
	v_dual_add_f32 v24, v32, v48 :: v_dual_fmac_f32 v39, -0.5, v11
	v_add_f32_e32 v11, v14, v13
	s_delay_alu instid0(VALU_DEP_2) | instskip(SKIP_1) | instid1(VALU_DEP_2)
	v_dual_add_f32 v14, v48, v49 :: v_dual_fmamk_f32 v13, v26, 0x3f5db3d7, v39
	v_fmac_f32_e32 v39, 0xbf5db3d7, v26
	v_fma_f32 v14, -0.5, v14, v32
	v_add_f32_e32 v26, v24, v49
	v_add_f32_e32 v24, v33, v15
	s_delay_alu instid0(VALU_DEP_3) | instskip(SKIP_3) | instid1(VALU_DEP_2)
	v_fmamk_f32 v32, v36, 0xbf5db3d7, v14
	v_fmac_f32_e32 v14, 0x3f5db3d7, v36
	v_add_f32_e32 v36, v45, v42
	v_fma_f32 v15, -0.5, v27, v33
	v_fmac_f32_e32 v35, -0.5, v36
	s_delay_alu instid0(VALU_DEP_2)
	v_fmamk_f32 v33, v37, 0x3f5db3d7, v15
	v_fmac_f32_e32 v15, 0xbf5db3d7, v37
	v_add_f32_e32 v37, v34, v44
	v_add_f32_e32 v27, v24, v40
	;; [unrolled: 1-line block ×3, first 2 shown]
	v_sub_f32_e32 v44, v44, v41
	s_delay_alu instid0(VALU_DEP_4) | instskip(NEXT) | instid1(VALU_DEP_3)
	v_dual_add_f32 v36, v37, v41 :: v_dual_add_f32 v37, v43, v42
	v_fma_f32 v34, -0.5, v24, v34
	s_delay_alu instid0(VALU_DEP_3) | instskip(NEXT) | instid1(VALU_DEP_1)
	v_dual_sub_f32 v24, v45, v42 :: v_dual_fmamk_f32 v41, v44, 0x3f5db3d7, v35
	v_dual_fmac_f32 v35, 0xbf5db3d7, v44 :: v_dual_fmamk_f32 v40, v24, 0xbf5db3d7, v34
	v_fmac_f32_e32 v34, 0x3f5db3d7, v24
	ds_store_2addr_b64 v137, v[6:7], v[8:9] offset1:13
	ds_store_b64 v137, v[4:5] offset:208
	ds_store_2addr_b64 v136, v[10:11], v[12:13] offset1:13
	ds_store_b64 v136, v[38:39] offset:208
	ds_store_2addr_b64 v135, v[26:27], v[32:33] offset1:13
	ds_store_b64 v135, v[14:15] offset:208
	ds_store_2addr_b64 v134, v[36:37], v[40:41] offset1:13
	ds_store_b64 v134, v[34:35] offset:208
	s_and_saveexec_b32 s1, s0
	s_cbranch_execz .LBB0_21
; %bb.20:
	v_dual_mul_f32 v4, v1, v58 :: v_dual_mul_f32 v5, v3, v60
	v_dual_mul_f32 v6, v1, v59 :: v_dual_mul_f32 v7, v3, v61
	s_delay_alu instid0(VALU_DEP_2) | instskip(NEXT) | instid1(VALU_DEP_3)
	v_fma_f32 v3, v0, v59, -v4
	v_fma_f32 v4, v2, v61, -v5
	s_delay_alu instid0(VALU_DEP_3) | instskip(SKIP_1) | instid1(VALU_DEP_3)
	v_dual_fmac_f32 v6, v0, v58 :: v_dual_fmac_f32 v7, v2, v60
	v_mul_u32_u24_e32 v5, 39, v133
	v_dual_add_f32 v0, v4, v3 :: v_dual_sub_f32 v9, v3, v4
	s_delay_alu instid0(VALU_DEP_3) | instskip(NEXT) | instid1(VALU_DEP_2)
	v_sub_f32_e32 v8, v6, v7
	v_fma_f32 v1, -0.5, v0, v57
	s_delay_alu instid0(VALU_DEP_4) | instskip(SKIP_2) | instid1(VALU_DEP_4)
	v_dual_add_f32 v5, v3, v57 :: v_dual_add_nc_u32 v10, v5, v131
	v_add_f32_e32 v2, v7, v6
	v_add_f32_e32 v6, v56, v6
	v_fmamk_f32 v3, v8, 0xbf5db3d7, v1
	v_fmac_f32_e32 v1, 0x3f5db3d7, v8
	v_add_f32_e32 v5, v4, v5
	v_fma_f32 v0, -0.5, v2, v56
	v_add_f32_e32 v4, v7, v6
	v_lshl_add_u32 v6, v10, 3, v129
	s_delay_alu instid0(VALU_DEP_3)
	v_fmamk_f32 v2, v9, 0x3f5db3d7, v0
	v_fmac_f32_e32 v0, 0xbf5db3d7, v9
	ds_store_2addr_b64 v6, v[4:5], v[0:1] offset1:13
	ds_store_b64 v6, v[2:3] offset:208
.LBB0_21:
	s_wait_alu 0xfffe
	s_or_b32 exec_lo, exec_lo, s1
	global_wb scope:SCOPE_SE
	s_wait_dscnt 0x0
	s_barrier_signal -1
	s_barrier_wait -1
	global_inv scope:SCOPE_SE
	ds_load_2addr_b64 v[4:7], v127 offset0:78 offset1:117
	ds_load_2addr_b64 v[8:11], v127 offset0:156 offset1:195
	v_add_nc_u32_e32 v3, 0x400, v127
	v_add_nc_u32_e32 v2, 0x800, v127
	s_mov_b32 s2, 0x1e01e01e
	s_mov_b32 s3, 0x3f5e01e0
	s_wait_dscnt 0x1
	v_mul_f32_e32 v1, v29, v4
	v_mul_f32_e32 v0, v29, v5
	ds_load_2addr_b64 v[12:15], v3 offset0:106 offset1:145
	ds_load_2addr_b64 v[32:35], v2 offset0:56 offset1:95
	;; [unrolled: 1-line block ×4, first 2 shown]
	s_wait_dscnt 0x4
	v_mul_f32_e32 v26, v31, v8
	ds_load_2addr_b64 v[44:47], v127 offset1:39
	v_fma_f32 v1, v28, v5, -v1
	v_fmac_f32_e32 v0, v28, v4
	global_wb scope:SCOPE_SE
	s_wait_dscnt 0x0
	s_barrier_signal -1
	s_barrier_wait -1
	global_inv scope:SCOPE_SE
	v_mul_f32_e32 v5, v21, v13
	v_mul_f32_e32 v24, v31, v9
	v_fma_f32 v4, v30, v9, -v26
	v_mul_f32_e32 v9, v23, v33
	v_dual_mul_f32 v26, v23, v32 :: v_dual_mul_f32 v27, v17, v37
	v_fmac_f32_e32 v5, v20, v12
	v_fmac_f32_e32 v24, v30, v8
	v_mul_f32_e32 v8, v21, v12
	v_fmac_f32_e32 v9, v22, v32
	v_fma_f32 v12, v22, v33, -v26
	v_mul_f32_e32 v26, v19, v41
	v_dual_mul_f32 v32, v19, v40 :: v_dual_mul_f32 v33, v29, v7
	v_mul_f32_e32 v29, v29, v6
	v_fmac_f32_e32 v27, v16, v36
	s_delay_alu instid0(VALU_DEP_4) | instskip(NEXT) | instid1(VALU_DEP_4)
	v_fmac_f32_e32 v26, v18, v40
	v_fma_f32 v32, v18, v41, -v32
	v_fmac_f32_e32 v33, v28, v6
	v_fma_f32 v8, v20, v13, -v8
	v_mul_f32_e32 v13, v17, v36
	v_fma_f32 v28, v28, v7, -v29
	v_mul_f32_e32 v29, v31, v11
	v_dual_mul_f32 v6, v31, v10 :: v_dual_mul_f32 v31, v21, v15
	v_mul_f32_e32 v7, v21, v14
	v_mul_f32_e32 v21, v23, v35
	s_delay_alu instid0(VALU_DEP_4) | instskip(NEXT) | instid1(VALU_DEP_4)
	v_fmac_f32_e32 v29, v30, v10
	v_fma_f32 v30, v30, v11, -v6
	v_mul_f32_e32 v6, v23, v34
	v_fma_f32 v13, v16, v37, -v13
	v_dual_mul_f32 v23, v17, v39 :: v_dual_mul_f32 v10, v19, v42
	s_delay_alu instid0(VALU_DEP_2)
	v_add_f32_e32 v11, v4, v13
	v_fmac_f32_e32 v31, v20, v14
	v_fma_f32 v20, v20, v15, -v7
	v_mul_f32_e32 v7, v17, v38
	v_mul_f32_e32 v17, v19, v43
	v_fma_f32 v19, v22, v35, -v6
	v_add_f32_e32 v6, v0, v26
	v_dual_fmac_f32 v21, v22, v34 :: v_dual_sub_f32 v4, v4, v13
	v_sub_f32_e32 v0, v0, v26
	v_dual_sub_f32 v14, v24, v27 :: v_dual_add_f32 v13, v5, v9
	v_sub_f32_e32 v5, v9, v5
	v_add_f32_e32 v15, v8, v12
	v_dual_sub_f32 v8, v12, v8 :: v_dual_fmac_f32 v17, v18, v42
	v_fma_f32 v18, v18, v43, -v10
	v_add_f32_e32 v10, v24, v27
	v_add_f32_e32 v26, v5, v14
	s_delay_alu instid0(VALU_DEP_4) | instskip(SKIP_1) | instid1(VALU_DEP_4)
	v_sub_f32_e32 v34, v8, v4
	v_add_f32_e32 v27, v8, v4
	v_add_f32_e32 v9, v10, v6
	v_sub_f32_e32 v22, v10, v6
	v_sub_f32_e32 v10, v13, v10
	v_fmac_f32_e32 v23, v16, v38
	v_fma_f32 v16, v16, v39, -v7
	v_add_f32_e32 v7, v1, v32
	v_add_f32_e32 v9, v13, v9
	v_sub_f32_e32 v1, v1, v32
	v_sub_f32_e32 v32, v5, v14
	v_sub_f32_e32 v14, v14, v0
	v_sub_f32_e32 v6, v6, v13
	v_add_f32_e32 v12, v11, v7
	v_sub_f32_e32 v24, v11, v7
	v_sub_f32_e32 v11, v15, v11
	v_dual_add_f32 v13, v26, v0 :: v_dual_mul_f32 v34, 0x3f08b237, v34
	s_delay_alu instid0(VALU_DEP_4)
	v_dual_add_f32 v12, v15, v12 :: v_dual_sub_f32 v5, v0, v5
	v_mul_f32_e32 v26, 0x3d64c772, v10
	v_mul_f32_e32 v6, 0x3f4a47b2, v6
	;; [unrolled: 1-line block ×3, first 2 shown]
	v_dual_add_f32 v0, v44, v9 :: v_dual_sub_f32 v7, v7, v15
	v_sub_f32_e32 v4, v4, v1
	v_dual_sub_f32 v8, v1, v8 :: v_dual_add_f32 v15, v27, v1
	v_dual_add_f32 v1, v45, v12 :: v_dual_fmamk_f32 v10, v10, 0x3d64c772, v6
	s_delay_alu instid0(VALU_DEP_4) | instskip(SKIP_2) | instid1(VALU_DEP_4)
	v_fmamk_f32 v9, v9, 0xbf955555, v0
	v_fma_f32 v26, 0x3f3bfb3b, v22, -v26
	v_mul_f32_e32 v36, 0xbf5ff5aa, v4
	v_fmamk_f32 v12, v12, 0xbf955555, v1
	v_mul_f32_e32 v7, 0x3f4a47b2, v7
	v_mul_f32_e32 v27, 0x3d64c772, v11
	v_fma_f32 v6, 0xbf3bfb3b, v22, -v6
	v_mul_f32_e32 v35, 0xbf5ff5aa, v14
	v_fma_f32 v14, 0xbf5ff5aa, v14, -v32
	v_fmamk_f32 v11, v11, 0x3d64c772, v7
	v_fma_f32 v27, 0x3f3bfb3b, v24, -v27
	v_fma_f32 v7, 0xbf3bfb3b, v24, -v7
	v_fmamk_f32 v24, v8, 0xbeae86e6, v34
	v_fmamk_f32 v22, v5, 0xbeae86e6, v32
	v_fma_f32 v32, 0xbf5ff5aa, v4, -v34
	v_fma_f32 v34, 0x3eae86e6, v5, -v35
	;; [unrolled: 1-line block ×3, first 2 shown]
	v_add_f32_e32 v36, v10, v9
	v_fmac_f32_e32 v24, 0xbee1c552, v15
	v_fmac_f32_e32 v14, 0xbee1c552, v13
	s_delay_alu instid0(VALU_DEP_4) | instskip(SKIP_1) | instid1(VALU_DEP_4)
	v_dual_add_f32 v10, v26, v9 :: v_dual_fmac_f32 v35, 0xbee1c552, v15
	v_add_f32_e32 v26, v6, v9
	v_add_f32_e32 v4, v24, v36
	v_add_f32_e32 v37, v11, v12
	v_add_f32_e32 v11, v27, v12
	v_dual_add_f32 v27, v7, v12 :: v_dual_fmac_f32 v22, 0xbee1c552, v13
	v_fmac_f32_e32 v34, 0xbee1c552, v13
	v_sub_f32_e32 v12, v26, v35
	s_delay_alu instid0(VALU_DEP_4) | instskip(NEXT) | instid1(VALU_DEP_4)
	v_add_f32_e32 v9, v14, v11
	v_dual_fmac_f32 v32, 0xbee1c552, v15 :: v_dual_sub_f32 v5, v37, v22
	s_delay_alu instid0(VALU_DEP_4) | instskip(SKIP_1) | instid1(VALU_DEP_3)
	v_sub_f32_e32 v7, v27, v34
	v_dual_add_f32 v6, v35, v26 :: v_dual_add_f32 v13, v34, v27
	v_dual_sub_f32 v8, v10, v32 :: v_dual_sub_f32 v11, v11, v14
	v_dual_add_f32 v10, v32, v10 :: v_dual_add_f32 v15, v22, v37
	v_sub_f32_e32 v14, v36, v24
	v_dual_add_f32 v22, v33, v17 :: v_dual_add_f32 v27, v30, v16
	v_dual_add_f32 v24, v28, v18 :: v_dual_sub_f32 v17, v33, v17
	v_sub_f32_e32 v18, v28, v18
	v_add_f32_e32 v26, v29, v23
	v_dual_sub_f32 v23, v29, v23 :: v_dual_add_f32 v28, v31, v21
	v_dual_sub_f32 v21, v21, v31 :: v_dual_sub_f32 v16, v30, v16
	v_add_f32_e32 v29, v20, v19
	v_sub_f32_e32 v19, v19, v20
	s_delay_alu instid0(VALU_DEP_3)
	v_dual_add_f32 v30, v27, v24 :: v_dual_add_f32 v33, v21, v23
	v_dual_sub_f32 v32, v27, v24 :: v_dual_sub_f32 v35, v21, v23
	v_dual_sub_f32 v23, v23, v17 :: v_dual_add_f32 v20, v26, v22
	v_sub_f32_e32 v27, v29, v27
	v_sub_f32_e32 v31, v26, v22
	v_dual_sub_f32 v22, v22, v28 :: v_dual_sub_f32 v21, v17, v21
	v_sub_f32_e32 v24, v24, v29
	v_sub_f32_e32 v26, v28, v26
	v_dual_add_f32 v20, v28, v20 :: v_dual_mul_f32 v35, 0x3f08b237, v35
	v_dual_add_f32 v28, v29, v30 :: v_dual_mul_f32 v37, 0xbf5ff5aa, v23
	v_dual_add_f32 v34, v19, v16 :: v_dual_sub_f32 v29, v16, v18
	s_delay_alu instid0(VALU_DEP_2) | instskip(SKIP_2) | instid1(VALU_DEP_4)
	v_dual_add_f32 v30, v33, v17 :: v_dual_add_f32 v17, v47, v28
	v_dual_sub_f32 v36, v19, v16 :: v_dual_mul_f32 v33, 0x3d64c772, v26
	v_dual_sub_f32 v19, v18, v19 :: v_dual_mul_f32 v24, 0x3f4a47b2, v24
	v_add_f32_e32 v18, v34, v18
	v_mul_f32_e32 v34, 0x3d64c772, v27
	v_fmamk_f32 v28, v28, 0xbf955555, v17
	v_fma_f32 v33, 0x3f3bfb3b, v31, -v33
	v_fmamk_f32 v27, v27, 0x3d64c772, v24
	v_mul_f32_e32 v22, 0x3f4a47b2, v22
	v_fma_f32 v34, 0x3f3bfb3b, v32, -v34
	v_mul_f32_e32 v38, 0xbf5ff5aa, v29
	v_fma_f32 v24, 0xbf3bfb3b, v32, -v24
	s_delay_alu instid0(VALU_DEP_4) | instskip(SKIP_4) | instid1(VALU_DEP_3)
	v_dual_add_f32 v39, v27, v28 :: v_dual_fmamk_f32 v26, v26, 0x3d64c772, v22
	v_fma_f32 v22, 0xbf3bfb3b, v31, -v22
	v_fmamk_f32 v31, v21, 0xbeae86e6, v35
	v_fma_f32 v35, 0xbf5ff5aa, v23, -v35
	v_add_f32_e32 v27, v34, v28
	v_dual_add_f32 v16, v46, v20 :: v_dual_fmac_f32 v31, 0xbee1c552, v30
	s_delay_alu instid0(VALU_DEP_3) | instskip(SKIP_1) | instid1(VALU_DEP_2)
	v_fmac_f32_e32 v35, 0xbee1c552, v30
	v_mul_f32_e32 v36, 0x3f08b237, v36
	v_dual_fmamk_f32 v20, v20, 0xbf955555, v16 :: v_dual_add_f32 v23, v35, v27
	v_sub_f32_e32 v27, v27, v35
	s_delay_alu instid0(VALU_DEP_3)
	v_fmamk_f32 v32, v19, 0xbeae86e6, v36
	v_fma_f32 v29, 0xbf5ff5aa, v29, -v36
	v_fma_f32 v36, 0x3eae86e6, v21, -v37
	;; [unrolled: 1-line block ×3, first 2 shown]
	v_sub_f32_e32 v19, v39, v31
	v_dual_add_f32 v31, v31, v39 :: v_dual_add_f32 v24, v24, v28
	s_delay_alu instid0(VALU_DEP_4) | instskip(SKIP_2) | instid1(VALU_DEP_3)
	v_fmac_f32_e32 v36, 0xbee1c552, v30
	v_fmac_f32_e32 v29, 0xbee1c552, v18
	;; [unrolled: 1-line block ×3, first 2 shown]
	v_sub_f32_e32 v21, v24, v36
	v_add_f32_e32 v38, v26, v20
	v_add_f32_e32 v26, v33, v20
	;; [unrolled: 1-line block ×3, first 2 shown]
	s_delay_alu instid0(VALU_DEP_2) | instskip(SKIP_2) | instid1(VALU_DEP_4)
	v_sub_f32_e32 v22, v26, v29
	v_dual_add_f32 v26, v29, v26 :: v_dual_add_f32 v29, v36, v24
	v_fmac_f32_e32 v32, 0xbee1c552, v18
	v_add_f32_e32 v20, v37, v33
	v_sub_f32_e32 v28, v33, v37
	s_delay_alu instid0(VALU_DEP_3)
	v_add_f32_e32 v18, v32, v38
	v_sub_f32_e32 v30, v38, v32
	ds_store_2addr_b64 v127, v[0:1], v[4:5] offset1:39
	ds_store_2addr_b64 v127, v[6:7], v[8:9] offset0:78 offset1:117
	ds_store_2addr_b64 v127, v[10:11], v[12:13] offset0:156 offset1:195
	ds_store_2addr_b64 v3, v[14:15], v[16:17] offset0:106 offset1:145
	ds_store_2addr_b64 v2, v[18:19], v[20:21] offset0:56 offset1:95
	ds_store_2addr_b64 v2, v[22:23], v[26:27] offset0:134 offset1:173
	ds_store_2addr_b64 v2, v[28:29], v[30:31] offset0:212 offset1:251
	global_wb scope:SCOPE_SE
	s_wait_dscnt 0x0
	s_barrier_signal -1
	s_barrier_wait -1
	global_inv scope:SCOPE_SE
	ds_load_2addr_b64 v[4:7], v3 offset0:106 offset1:145
	ds_load_2addr_b64 v[8:11], v2 offset0:56 offset1:95
	;; [unrolled: 1-line block ×3, first 2 shown]
	ds_load_2addr_b64 v[16:19], v127 offset1:39
	ds_load_2addr_b64 v[20:23], v127 offset0:78 offset1:117
	ds_load_2addr_b64 v[26:29], v2 offset0:212 offset1:251
	;; [unrolled: 1-line block ×3, first 2 shown]
	s_wait_dscnt 0x6
	v_mul_f32_e32 v1, v118, v6
	s_wait_dscnt 0x5
	v_mul_f32_e32 v24, v122, v9
	v_mul_f32_e32 v34, v122, v8
	;; [unrolled: 1-line block ×3, first 2 shown]
	s_wait_dscnt 0x4
	v_mul_f32_e32 v36, v110, v15
	v_fma_f32 v1, v117, v7, -v1
	v_fmac_f32_e32 v24, v121, v8
	v_mul_f32_e32 v8, v120, v12
	s_wait_dscnt 0x1
	v_mul_f32_e32 v38, v112, v27
	v_mul_f32_e32 v39, v116, v29
	v_sub_f32_e32 v1, v17, v1
	v_fmac_f32_e32 v35, v113, v10
	v_fma_f32 v37, v119, v13, -v8
	v_mul_f32_e32 v8, v112, v26
	v_mul_f32_e32 v0, v118, v7
	v_dual_fmac_f32 v36, v109, v14 :: v_dual_fmac_f32 v39, v115, v28
	v_fmac_f32_e32 v38, v111, v26
	s_delay_alu instid0(VALU_DEP_4) | instskip(SKIP_1) | instid1(VALU_DEP_1)
	v_fma_f32 v27, v111, v27, -v8
	s_wait_dscnt 0x0
	v_dual_sub_f32 v26, v32, v38 :: v_dual_sub_f32 v27, v33, v27
	v_fma_f32 v7, v121, v9, -v34
	v_fma_f32 v9, v17, 2.0, -v1
	v_dual_sub_f32 v17, v23, v37 :: v_dual_fmac_f32 v0, v117, v6
	v_mul_f32_e32 v6, v114, v10
	s_delay_alu instid0(VALU_DEP_4) | instskip(SKIP_1) | instid1(VALU_DEP_4)
	v_dual_mul_f32 v34, v120, v13 :: v_dual_sub_f32 v7, v19, v7
	v_sub_f32_e32 v10, v20, v35
	v_sub_f32_e32 v0, v16, v0
	s_delay_alu instid0(VALU_DEP_4)
	v_fma_f32 v11, v113, v11, -v6
	v_mul_f32_e32 v6, v110, v14
	v_fmac_f32_e32 v34, v119, v12
	v_fma_f32 v13, v19, 2.0, -v7
	v_fma_f32 v8, v16, 2.0, -v0
	v_sub_f32_e32 v11, v21, v11
	v_fma_f32 v40, v109, v15, -v6
	v_mul_f32_e32 v6, v116, v28
	v_sub_f32_e32 v16, v22, v34
	v_sub_f32_e32 v28, v4, v39
	v_fma_f32 v14, v20, 2.0, -v10
	v_sub_f32_e32 v19, v31, v40
	v_fma_f32 v29, v115, v29, -v6
	v_sub_f32_e32 v6, v18, v24
	v_add_nc_u32_e32 v24, 0x800, v130
	v_fma_f32 v15, v21, 2.0, -v11
	v_fma_f32 v20, v22, 2.0, -v16
	v_sub_f32_e32 v29, v5, v29
	v_fma_f32 v12, v18, 2.0, -v6
	v_sub_f32_e32 v18, v30, v36
	v_fma_f32 v21, v23, 2.0, -v17
	v_fma_f32 v23, v31, 2.0, -v19
	;; [unrolled: 1-line block ×7, first 2 shown]
	ds_store_b64 v127, v[8:9]
	ds_store_2addr_b64 v24, v[0:1], v[6:7] offset0:17 offset1:56
	ds_store_2addr_b64 v130, v[12:13], v[14:15] offset0:39 offset1:78
	;; [unrolled: 1-line block ×4, first 2 shown]
	ds_store_b64 v130, v[18:19] offset:3432
	ds_store_b64 v130, v[30:31] offset:1560
	ds_store_b64 v62, v[26:27] offset:2184
	ds_store_b64 v130, v[4:5] offset:1872
	ds_store_b64 v25, v[28:29] offset:2184
	global_wb scope:SCOPE_SE
	s_wait_dscnt 0x0
	s_barrier_signal -1
	s_barrier_wait -1
	global_inv scope:SCOPE_SE
	ds_load_2addr_b64 v[4:7], v127 offset1:42
	v_mad_co_u64_u32 v[22:23], null, s4, v128, 0
	s_wait_dscnt 0x0
	v_mul_f32_e32 v0, v106, v5
	v_dual_mul_f32 v1, v106, v4 :: v_dual_mul_f32 v10, v108, v7
	s_delay_alu instid0(VALU_DEP_2) | instskip(NEXT) | instid1(VALU_DEP_2)
	v_fmac_f32_e32 v0, v105, v4
	v_fma_f32 v5, v105, v5, -v1
	v_mul_f32_e32 v4, v108, v6
	s_delay_alu instid0(VALU_DEP_4) | instskip(NEXT) | instid1(VALU_DEP_4)
	v_fmac_f32_e32 v10, v107, v6
	v_cvt_f64_f32_e32 v[0:1], v0
	s_delay_alu instid0(VALU_DEP_4) | instskip(NEXT) | instid1(VALU_DEP_4)
	v_cvt_f64_f32_e32 v[8:9], v5
	v_fma_f32 v4, v107, v7, -v4
	s_delay_alu instid0(VALU_DEP_4) | instskip(NEXT) | instid1(VALU_DEP_2)
	v_cvt_f64_f32_e32 v[10:11], v10
	v_cvt_f64_f32_e32 v[12:13], v4
	ds_load_2addr_b64 v[4:7], v127 offset0:84 offset1:126
	s_wait_dscnt 0x0
	v_mul_f32_e32 v18, v104, v5
	v_mul_f32_e32 v19, v104, v4
	s_delay_alu instid0(VALU_DEP_2)
	v_fmac_f32_e32 v18, v103, v4
	s_wait_alu 0xfffe
	v_mul_f64_e32 v[0:1], s[2:3], v[0:1]
	v_mul_f64_e32 v[14:15], s[2:3], v[8:9]
	v_fma_f32 v8, v103, v5, -v19
	v_mul_f64_e32 v[16:17], s[2:3], v[10:11]
	v_cvt_f64_f32_e32 v[18:19], v18
	v_mov_b32_e32 v9, v23
	v_mul_f64_e32 v[4:5], s[2:3], v[12:13]
	v_mad_co_u64_u32 v[12:13], null, s6, v94, 0
	v_cvt_f64_f32_e32 v[20:21], v8
	s_delay_alu instid0(VALU_DEP_2) | instskip(NEXT) | instid1(VALU_DEP_1)
	v_mov_b32_e32 v8, v13
	v_mad_co_u64_u32 v[23:24], null, s7, v94, v[8:9]
	v_mad_co_u64_u32 v[24:25], null, s5, v128, v[9:10]
	ds_load_2addr_b64 v[8:11], v127 offset0:168 offset1:210
	s_mul_u64 s[6:7], s[4:5], 42
	s_wait_alu 0xfffe
	s_lshl_b64 s[6:7], s[6:7], 3
	v_mov_b32_e32 v13, v23
	v_mov_b32_e32 v23, v24
	s_delay_alu instid0(VALU_DEP_2) | instskip(NEXT) | instid1(VALU_DEP_2)
	v_lshlrev_b64_e32 v[24:25], 3, v[12:13]
	v_lshlrev_b64_e32 v[22:23], 3, v[22:23]
	v_cvt_f32_f64_e32 v0, v[0:1]
	v_cvt_f32_f64_e32 v1, v[14:15]
	ds_load_2addr_b64 v[12:15], v3 offset0:124 offset1:166
	v_cvt_f32_f64_e32 v26, v[16:17]
	v_mul_f64_e32 v[28:29], s[2:3], v[18:19]
	v_add_co_u32 v54, s0, s10, v24
	v_cvt_f32_f64_e32 v27, v[4:5]
	v_mul_f32_e32 v4, v100, v7
	s_wait_dscnt 0x1
	v_dual_mul_f32 v5, v100, v6 :: v_dual_mul_f32 v16, v102, v9
	v_mul_f32_e32 v17, v89, v11
	v_mul_f64_e32 v[20:21], s[2:3], v[20:21]
	v_fmac_f32_e32 v4, v99, v6
	v_mul_f32_e32 v6, v102, v8
	s_delay_alu instid0(VALU_DEP_4) | instskip(SKIP_1) | instid1(VALU_DEP_4)
	v_dual_fmac_f32 v16, v101, v8 :: v_dual_fmac_f32 v17, v88, v10
	v_fma_f32 v5, v99, v7, -v5
	v_cvt_f64_f32_e32 v[30:31], v4
	s_delay_alu instid0(VALU_DEP_4) | instskip(NEXT) | instid1(VALU_DEP_4)
	v_fma_f32 v18, v101, v9, -v6
	v_cvt_f64_f32_e32 v[32:33], v16
	v_cvt_f64_f32_e32 v[36:37], v17
	s_wait_dscnt 0x0
	v_mul_f32_e32 v38, v91, v13
	v_dual_mul_f32 v39, v91, v12 :: v_dual_mul_f32 v40, v93, v15
	v_cvt_f64_f32_e32 v[34:35], v18
	ds_load_2addr_b64 v[16:19], v2 offset0:164 offset1:206
	v_dual_mul_f32 v41, v93, v14 :: v_dual_fmac_f32 v38, v90, v12
	v_fma_f32 v39, v90, v13, -v39
	v_fmac_f32_e32 v40, v92, v14
	v_cvt_f64_f32_e32 v[8:9], v5
	ds_load_2addr_b64 v[4:7], v2 offset0:80 offset1:122
	v_mul_f32_e32 v10, v89, v10
	v_fma_f32 v42, v92, v15, -v41
	v_cvt_f64_f32_e32 v[12:13], v38
	v_cvt_f64_f32_e32 v[14:15], v39
	;; [unrolled: 1-line block ×3, first 2 shown]
	ds_load_b64 v[40:41], v127 offset:4032
	v_fma_f32 v10, v88, v11, -v10
	v_cvt_f64_f32_e32 v[42:43], v42
	s_wait_alu 0xf1ff
	v_add_co_ci_u32_e64 v55, s0, s11, v25, s0
	v_add_co_u32 v22, s0, v54, v22
	v_cvt_f64_f32_e32 v[10:11], v10
	s_wait_dscnt 0x2
	v_dual_mul_f32 v51, v96, v18 :: v_dual_mul_f32 v48, v85, v17
	v_mul_f32_e32 v50, v96, v19
	s_wait_alu 0xf1ff
	v_add_co_ci_u32_e64 v23, s0, v55, v23, s0
	s_delay_alu instid0(VALU_DEP_3)
	v_fma_f32 v51, v95, v19, -v51
	s_wait_dscnt 0x1
	v_mul_f32_e32 v44, v83, v5
	v_mul_f32_e32 v45, v83, v4
	;; [unrolled: 1-line block ×3, first 2 shown]
	v_dual_mul_f32 v47, v87, v6 :: v_dual_fmac_f32 v48, v84, v16
	v_mul_f32_e32 v16, v85, v16
	s_wait_dscnt 0x0
	v_mul_f32_e32 v52, v98, v41
	v_mul_f32_e32 v53, v98, v40
	v_fmac_f32_e32 v44, v82, v4
	v_fma_f32 v45, v82, v5, -v45
	v_fmac_f32_e32 v46, v86, v6
	v_fma_f32 v47, v86, v7, -v47
	v_fma_f32 v16, v84, v17, -v16
	v_fmac_f32_e32 v50, v95, v18
	v_fmac_f32_e32 v52, v97, v40
	v_fma_f32 v53, v97, v41, -v53
	v_cvt_f64_f32_e32 v[4:5], v44
	v_cvt_f64_f32_e32 v[6:7], v45
	;; [unrolled: 1-line block ×10, first 2 shown]
	v_mul_f64_e32 v[24:25], s[2:3], v[30:31]
	v_mul_f64_e32 v[8:9], s[2:3], v[8:9]
	;; [unrolled: 1-line block ×6, first 2 shown]
	s_wait_alu 0xfffe
	v_add_co_u32 v34, s0, v22, s6
	v_mul_f64_e32 v[12:13], s[2:3], v[12:13]
	v_mul_f64_e32 v[14:15], s[2:3], v[14:15]
	s_wait_alu 0xf1ff
	v_add_co_ci_u32_e64 v35, s0, s7, v23, s0
	s_clause 0x1
	global_store_b64 v[22:23], v[0:1], off
	global_store_b64 v[34:35], v[26:27], off
	v_mul_f64_e32 v[0:1], s[2:3], v[38:39]
	v_mul_f64_e32 v[22:23], s[2:3], v[42:43]
	v_cvt_f32_f64_e32 v28, v[28:29]
	v_cvt_f32_f64_e32 v29, v[20:21]
	v_add_co_u32 v20, s0, v34, s6
	s_wait_alu 0xf1ff
	v_add_co_ci_u32_e64 v21, s0, s7, v35, s0
	v_mul_f64_e32 v[4:5], s[2:3], v[4:5]
	v_mul_f64_e32 v[6:7], s[2:3], v[6:7]
	;; [unrolled: 1-line block ×10, first 2 shown]
	v_cvt_f32_f64_e32 v24, v[24:25]
	v_cvt_f32_f64_e32 v25, v[8:9]
	;; [unrolled: 1-line block ×6, first 2 shown]
	v_add_co_u32 v8, s0, v20, s6
	s_wait_alu 0xf1ff
	v_add_co_ci_u32_e64 v9, s0, s7, v21, s0
	v_cvt_f32_f64_e32 v10, v[12:13]
	v_cvt_f32_f64_e32 v11, v[14:15]
	v_add_co_u32 v32, s0, v8, s6
	s_wait_alu 0xf1ff
	v_add_co_ci_u32_e64 v33, s0, s7, v9, s0
	v_cvt_f32_f64_e32 v0, v[0:1]
	v_cvt_f32_f64_e32 v1, v[22:23]
	v_add_co_u32 v12, s0, v32, s6
	s_wait_alu 0xf1ff
	v_add_co_ci_u32_e64 v13, s0, s7, v33, s0
	global_store_b64 v[20:21], v[28:29], off
	v_add_co_u32 v22, s0, v12, s6
	s_wait_alu 0xf1ff
	v_add_co_ci_u32_e64 v23, s0, s7, v13, s0
	v_cvt_f32_f64_e32 v4, v[4:5]
	v_cvt_f32_f64_e32 v5, v[6:7]
	;; [unrolled: 1-line block ×10, first 2 shown]
	v_add_co_u32 v20, s0, v22, s6
	s_wait_alu 0xf1ff
	v_add_co_ci_u32_e64 v21, s0, s7, v23, s0
	global_store_b64 v[8:9], v[24:25], off
	v_add_co_u32 v8, s0, v20, s6
	s_wait_alu 0xf1ff
	v_add_co_ci_u32_e64 v9, s0, s7, v21, s0
	global_store_b64 v[32:33], v[30:31], off
	;; [unrolled: 4-line block ×6, first 2 shown]
	global_store_b64 v[24:25], v[6:7], off
	global_store_b64 v[12:13], v[14:15], off
	global_store_b64 v[10:11], v[16:17], off
	global_store_b64 v[0:1], v[18:19], off
	s_and_b32 exec_lo, exec_lo, vcc_lo
	s_cbranch_execz .LBB0_23
; %bb.22:
	global_load_b64 v[4:5], v[80:81], off offset:312
	ds_load_b64 v[6:7], v130 offset:312
	v_mad_co_u64_u32 v[0:1], null, 0xfffff178, s4, v[0:1]
	s_mul_i32 s0, s5, 0xfffff178
	s_wait_alu 0xfffe
	s_sub_co_i32 s0, s0, s4
	s_wait_alu 0xfffe
	s_delay_alu instid0(VALU_DEP_1) | instskip(SKIP_3) | instid1(VALU_DEP_2)
	v_add_nc_u32_e32 v1, s0, v1
	s_wait_loadcnt_dscnt 0x0
	v_mul_f32_e32 v8, v7, v5
	v_mul_f32_e32 v5, v6, v5
	v_fmac_f32_e32 v8, v6, v4
	s_delay_alu instid0(VALU_DEP_2) | instskip(NEXT) | instid1(VALU_DEP_2)
	v_fma_f32 v6, v4, v7, -v5
	v_cvt_f64_f32_e32 v[4:5], v8
	s_delay_alu instid0(VALU_DEP_2) | instskip(NEXT) | instid1(VALU_DEP_2)
	v_cvt_f64_f32_e32 v[6:7], v6
	v_mul_f64_e32 v[4:5], s[2:3], v[4:5]
	s_delay_alu instid0(VALU_DEP_2) | instskip(NEXT) | instid1(VALU_DEP_2)
	v_mul_f64_e32 v[6:7], s[2:3], v[6:7]
	v_cvt_f32_f64_e32 v4, v[4:5]
	s_delay_alu instid0(VALU_DEP_2)
	v_cvt_f32_f64_e32 v5, v[6:7]
	global_store_b64 v[0:1], v[4:5], off
	global_load_b64 v[8:9], v[80:81], off offset:648
	ds_load_2addr_b64 v[4:7], v127 offset0:81 offset1:123
	v_add_co_u32 v0, vcc_lo, v0, s6
	s_wait_alu 0xfffd
	v_add_co_ci_u32_e32 v1, vcc_lo, s7, v1, vcc_lo
	s_wait_loadcnt_dscnt 0x0
	v_mul_f32_e32 v10, v5, v9
	v_mul_f32_e32 v9, v4, v9
	s_delay_alu instid0(VALU_DEP_2) | instskip(NEXT) | instid1(VALU_DEP_2)
	v_fmac_f32_e32 v10, v4, v8
	v_fma_f32 v8, v8, v5, -v9
	s_delay_alu instid0(VALU_DEP_2) | instskip(NEXT) | instid1(VALU_DEP_2)
	v_cvt_f64_f32_e32 v[4:5], v10
	v_cvt_f64_f32_e32 v[8:9], v8
	s_delay_alu instid0(VALU_DEP_2) | instskip(NEXT) | instid1(VALU_DEP_2)
	v_mul_f64_e32 v[4:5], s[2:3], v[4:5]
	v_mul_f64_e32 v[8:9], s[2:3], v[8:9]
	s_delay_alu instid0(VALU_DEP_2) | instskip(NEXT) | instid1(VALU_DEP_2)
	v_cvt_f32_f64_e32 v4, v[4:5]
	v_cvt_f32_f64_e32 v5, v[8:9]
	global_store_b64 v[0:1], v[4:5], off
	global_load_b64 v[4:5], v[80:81], off offset:984
	v_add_co_u32 v0, vcc_lo, v0, s6
	s_wait_alu 0xfffd
	v_add_co_ci_u32_e32 v1, vcc_lo, s7, v1, vcc_lo
	s_wait_loadcnt 0x0
	v_mul_f32_e32 v8, v7, v5
	v_mul_f32_e32 v5, v6, v5
	s_delay_alu instid0(VALU_DEP_2) | instskip(NEXT) | instid1(VALU_DEP_2)
	v_fmac_f32_e32 v8, v6, v4
	v_fma_f32 v6, v4, v7, -v5
	s_delay_alu instid0(VALU_DEP_2) | instskip(NEXT) | instid1(VALU_DEP_2)
	v_cvt_f64_f32_e32 v[4:5], v8
	v_cvt_f64_f32_e32 v[6:7], v6
	s_delay_alu instid0(VALU_DEP_2) | instskip(NEXT) | instid1(VALU_DEP_2)
	v_mul_f64_e32 v[4:5], s[2:3], v[4:5]
	v_mul_f64_e32 v[6:7], s[2:3], v[6:7]
	s_delay_alu instid0(VALU_DEP_2) | instskip(NEXT) | instid1(VALU_DEP_2)
	v_cvt_f32_f64_e32 v4, v[4:5]
	v_cvt_f32_f64_e32 v5, v[6:7]
	global_store_b64 v[0:1], v[4:5], off
	global_load_b64 v[8:9], v[80:81], off offset:1320
	ds_load_2addr_b64 v[4:7], v127 offset0:165 offset1:207
	v_add_co_u32 v0, vcc_lo, v0, s6
	s_wait_alu 0xfffd
	v_add_co_ci_u32_e32 v1, vcc_lo, s7, v1, vcc_lo
	s_wait_loadcnt_dscnt 0x0
	v_mul_f32_e32 v10, v5, v9
	v_mul_f32_e32 v9, v4, v9
	s_delay_alu instid0(VALU_DEP_2) | instskip(NEXT) | instid1(VALU_DEP_2)
	v_fmac_f32_e32 v10, v4, v8
	v_fma_f32 v8, v8, v5, -v9
	s_delay_alu instid0(VALU_DEP_2) | instskip(NEXT) | instid1(VALU_DEP_2)
	v_cvt_f64_f32_e32 v[4:5], v10
	v_cvt_f64_f32_e32 v[8:9], v8
	s_delay_alu instid0(VALU_DEP_2) | instskip(NEXT) | instid1(VALU_DEP_2)
	v_mul_f64_e32 v[4:5], s[2:3], v[4:5]
	v_mul_f64_e32 v[8:9], s[2:3], v[8:9]
	s_delay_alu instid0(VALU_DEP_2) | instskip(NEXT) | instid1(VALU_DEP_2)
	v_cvt_f32_f64_e32 v4, v[4:5]
	v_cvt_f32_f64_e32 v5, v[8:9]
	global_store_b64 v[0:1], v[4:5], off
	global_load_b64 v[4:5], v[80:81], off offset:1656
	v_add_co_u32 v0, vcc_lo, v0, s6
	s_wait_alu 0xfffd
	v_add_co_ci_u32_e32 v1, vcc_lo, s7, v1, vcc_lo
	s_wait_loadcnt 0x0
	v_mul_f32_e32 v8, v7, v5
	v_mul_f32_e32 v5, v6, v5
	s_delay_alu instid0(VALU_DEP_2) | instskip(NEXT) | instid1(VALU_DEP_2)
	v_fmac_f32_e32 v8, v6, v4
	v_fma_f32 v6, v4, v7, -v5
	s_delay_alu instid0(VALU_DEP_2) | instskip(NEXT) | instid1(VALU_DEP_2)
	v_cvt_f64_f32_e32 v[4:5], v8
	v_cvt_f64_f32_e32 v[6:7], v6
	s_delay_alu instid0(VALU_DEP_2) | instskip(NEXT) | instid1(VALU_DEP_2)
	v_mul_f64_e32 v[4:5], s[2:3], v[4:5]
	v_mul_f64_e32 v[6:7], s[2:3], v[6:7]
	s_delay_alu instid0(VALU_DEP_2) | instskip(NEXT) | instid1(VALU_DEP_2)
	v_cvt_f32_f64_e32 v4, v[4:5]
	;; [unrolled: 41-line block ×3, first 2 shown]
	v_cvt_f32_f64_e32 v4, v[5:6]
	global_store_b64 v[0:1], v[3:4], off
	global_load_b64 v[7:8], v[80:81], off offset:2664
	ds_load_2addr_b64 v[3:6], v2 offset0:77 offset1:119
	v_add_co_u32 v0, vcc_lo, v0, s6
	s_wait_alu 0xfffd
	v_add_co_ci_u32_e32 v1, vcc_lo, s7, v1, vcc_lo
	s_wait_loadcnt_dscnt 0x0
	v_mul_f32_e32 v9, v4, v8
	v_mul_f32_e32 v8, v3, v8
	s_delay_alu instid0(VALU_DEP_2) | instskip(NEXT) | instid1(VALU_DEP_2)
	v_fmac_f32_e32 v9, v3, v7
	v_fma_f32 v7, v7, v4, -v8
	s_delay_alu instid0(VALU_DEP_2) | instskip(NEXT) | instid1(VALU_DEP_2)
	v_cvt_f64_f32_e32 v[3:4], v9
	v_cvt_f64_f32_e32 v[7:8], v7
	s_delay_alu instid0(VALU_DEP_2) | instskip(NEXT) | instid1(VALU_DEP_2)
	v_mul_f64_e32 v[3:4], s[2:3], v[3:4]
	v_mul_f64_e32 v[7:8], s[2:3], v[7:8]
	s_delay_alu instid0(VALU_DEP_2) | instskip(NEXT) | instid1(VALU_DEP_2)
	v_cvt_f32_f64_e32 v3, v[3:4]
	v_cvt_f32_f64_e32 v4, v[7:8]
	global_store_b64 v[0:1], v[3:4], off
	global_load_b64 v[3:4], v[80:81], off offset:3000
	s_wait_loadcnt 0x0
	v_mul_f32_e32 v7, v6, v4
	v_mul_f32_e32 v4, v5, v4
	s_delay_alu instid0(VALU_DEP_2) | instskip(NEXT) | instid1(VALU_DEP_2)
	v_fmac_f32_e32 v7, v5, v3
	v_fma_f32 v5, v3, v6, -v4
	s_delay_alu instid0(VALU_DEP_2) | instskip(NEXT) | instid1(VALU_DEP_2)
	v_cvt_f64_f32_e32 v[3:4], v7
	v_cvt_f64_f32_e32 v[5:6], v5
	s_delay_alu instid0(VALU_DEP_2) | instskip(NEXT) | instid1(VALU_DEP_2)
	v_mul_f64_e32 v[3:4], s[2:3], v[3:4]
	v_mul_f64_e32 v[5:6], s[2:3], v[5:6]
	s_delay_alu instid0(VALU_DEP_2) | instskip(NEXT) | instid1(VALU_DEP_2)
	v_cvt_f32_f64_e32 v3, v[3:4]
	v_cvt_f32_f64_e32 v4, v[5:6]
	v_add_co_u32 v5, vcc_lo, v0, s6
	s_wait_alu 0xfffd
	v_add_co_ci_u32_e32 v6, vcc_lo, s7, v1, vcc_lo
	global_store_b64 v[5:6], v[3:4], off
	global_load_b64 v[7:8], v[80:81], off offset:3336
	ds_load_2addr_b64 v[0:3], v2 offset0:161 offset1:203
	s_wait_loadcnt_dscnt 0x0
	v_mul_f32_e32 v4, v1, v8
	v_mul_f32_e32 v8, v0, v8
	s_delay_alu instid0(VALU_DEP_2) | instskip(NEXT) | instid1(VALU_DEP_2)
	v_fmac_f32_e32 v4, v0, v7
	v_fma_f32 v7, v7, v1, -v8
	s_delay_alu instid0(VALU_DEP_2) | instskip(NEXT) | instid1(VALU_DEP_2)
	v_cvt_f64_f32_e32 v[0:1], v4
	v_cvt_f64_f32_e32 v[7:8], v7
	v_add_co_u32 v4, vcc_lo, v5, s6
	s_wait_alu 0xfffd
	v_add_co_ci_u32_e32 v5, vcc_lo, s7, v6, vcc_lo
	s_delay_alu instid0(VALU_DEP_4) | instskip(NEXT) | instid1(VALU_DEP_4)
	v_mul_f64_e32 v[0:1], s[2:3], v[0:1]
	v_mul_f64_e32 v[7:8], s[2:3], v[7:8]
	s_delay_alu instid0(VALU_DEP_2) | instskip(NEXT) | instid1(VALU_DEP_2)
	v_cvt_f32_f64_e32 v0, v[0:1]
	v_cvt_f32_f64_e32 v1, v[7:8]
	global_store_b64 v[4:5], v[0:1], off
	global_load_b64 v[0:1], v[80:81], off offset:3672
	v_add_co_u32 v4, vcc_lo, v4, s6
	s_wait_alu 0xfffd
	v_add_co_ci_u32_e32 v5, vcc_lo, s7, v5, vcc_lo
	s_wait_loadcnt 0x0
	v_mul_f32_e32 v6, v3, v1
	v_mul_f32_e32 v1, v2, v1
	s_delay_alu instid0(VALU_DEP_2) | instskip(NEXT) | instid1(VALU_DEP_2)
	v_fmac_f32_e32 v6, v2, v0
	v_fma_f32 v2, v0, v3, -v1
	s_delay_alu instid0(VALU_DEP_2) | instskip(NEXT) | instid1(VALU_DEP_2)
	v_cvt_f64_f32_e32 v[0:1], v6
	v_cvt_f64_f32_e32 v[2:3], v2
	s_delay_alu instid0(VALU_DEP_2) | instskip(NEXT) | instid1(VALU_DEP_2)
	v_mul_f64_e32 v[0:1], s[2:3], v[0:1]
	v_mul_f64_e32 v[2:3], s[2:3], v[2:3]
	s_delay_alu instid0(VALU_DEP_2) | instskip(NEXT) | instid1(VALU_DEP_2)
	v_cvt_f32_f64_e32 v0, v[0:1]
	v_cvt_f32_f64_e32 v1, v[2:3]
	global_store_b64 v[4:5], v[0:1], off
	global_load_b64 v[6:7], v[80:81], off offset:4008
	v_add_nc_u32_e32 v0, 0xc00, v127
	v_add_co_u32 v4, vcc_lo, v4, s6
	s_wait_alu 0xfffd
	v_add_co_ci_u32_e32 v5, vcc_lo, s7, v5, vcc_lo
	ds_load_2addr_b64 v[0:3], v0 offset0:117 offset1:159
	s_wait_loadcnt_dscnt 0x0
	v_mul_f32_e32 v8, v1, v7
	v_mul_f32_e32 v7, v0, v7
	s_delay_alu instid0(VALU_DEP_2) | instskip(NEXT) | instid1(VALU_DEP_2)
	v_fmac_f32_e32 v8, v0, v6
	v_fma_f32 v6, v6, v1, -v7
	s_delay_alu instid0(VALU_DEP_2) | instskip(NEXT) | instid1(VALU_DEP_2)
	v_cvt_f64_f32_e32 v[0:1], v8
	v_cvt_f64_f32_e32 v[6:7], v6
	s_delay_alu instid0(VALU_DEP_2) | instskip(NEXT) | instid1(VALU_DEP_2)
	v_mul_f64_e32 v[0:1], s[2:3], v[0:1]
	v_mul_f64_e32 v[6:7], s[2:3], v[6:7]
	s_delay_alu instid0(VALU_DEP_2) | instskip(NEXT) | instid1(VALU_DEP_2)
	v_cvt_f32_f64_e32 v0, v[0:1]
	v_cvt_f32_f64_e32 v1, v[6:7]
	global_store_b64 v[4:5], v[0:1], off
	global_load_b64 v[0:1], v[80:81], off offset:4344
	s_wait_loadcnt 0x0
	v_mul_f32_e32 v6, v3, v1
	v_mul_f32_e32 v1, v2, v1
	s_delay_alu instid0(VALU_DEP_2) | instskip(NEXT) | instid1(VALU_DEP_2)
	v_fmac_f32_e32 v6, v2, v0
	v_fma_f32 v2, v0, v3, -v1
	s_delay_alu instid0(VALU_DEP_2) | instskip(NEXT) | instid1(VALU_DEP_2)
	v_cvt_f64_f32_e32 v[0:1], v6
	v_cvt_f64_f32_e32 v[2:3], v2
	s_delay_alu instid0(VALU_DEP_2) | instskip(NEXT) | instid1(VALU_DEP_2)
	v_mul_f64_e32 v[0:1], s[2:3], v[0:1]
	v_mul_f64_e32 v[2:3], s[2:3], v[2:3]
	s_delay_alu instid0(VALU_DEP_2) | instskip(NEXT) | instid1(VALU_DEP_2)
	v_cvt_f32_f64_e32 v0, v[0:1]
	v_cvt_f32_f64_e32 v1, v[2:3]
	v_add_co_u32 v2, vcc_lo, v4, s6
	s_wait_alu 0xfffd
	v_add_co_ci_u32_e32 v3, vcc_lo, s7, v5, vcc_lo
	global_store_b64 v[2:3], v[0:1], off
.LBB0_23:
	s_nop 0
	s_sendmsg sendmsg(MSG_DEALLOC_VGPRS)
	s_endpgm
	.section	.rodata,"a",@progbits
	.p2align	6, 0x0
	.amdhsa_kernel bluestein_single_back_len546_dim1_sp_op_CI_CI
		.amdhsa_group_segment_fixed_size 13104
		.amdhsa_private_segment_fixed_size 0
		.amdhsa_kernarg_size 104
		.amdhsa_user_sgpr_count 2
		.amdhsa_user_sgpr_dispatch_ptr 0
		.amdhsa_user_sgpr_queue_ptr 0
		.amdhsa_user_sgpr_kernarg_segment_ptr 1
		.amdhsa_user_sgpr_dispatch_id 0
		.amdhsa_user_sgpr_private_segment_size 0
		.amdhsa_wavefront_size32 1
		.amdhsa_uses_dynamic_stack 0
		.amdhsa_enable_private_segment 0
		.amdhsa_system_sgpr_workgroup_id_x 1
		.amdhsa_system_sgpr_workgroup_id_y 0
		.amdhsa_system_sgpr_workgroup_id_z 0
		.amdhsa_system_sgpr_workgroup_info 0
		.amdhsa_system_vgpr_workitem_id 0
		.amdhsa_next_free_vgpr 205
		.amdhsa_next_free_sgpr 16
		.amdhsa_reserve_vcc 1
		.amdhsa_float_round_mode_32 0
		.amdhsa_float_round_mode_16_64 0
		.amdhsa_float_denorm_mode_32 3
		.amdhsa_float_denorm_mode_16_64 3
		.amdhsa_fp16_overflow 0
		.amdhsa_workgroup_processor_mode 1
		.amdhsa_memory_ordered 1
		.amdhsa_forward_progress 0
		.amdhsa_round_robin_scheduling 0
		.amdhsa_exception_fp_ieee_invalid_op 0
		.amdhsa_exception_fp_denorm_src 0
		.amdhsa_exception_fp_ieee_div_zero 0
		.amdhsa_exception_fp_ieee_overflow 0
		.amdhsa_exception_fp_ieee_underflow 0
		.amdhsa_exception_fp_ieee_inexact 0
		.amdhsa_exception_int_div_zero 0
	.end_amdhsa_kernel
	.text
.Lfunc_end0:
	.size	bluestein_single_back_len546_dim1_sp_op_CI_CI, .Lfunc_end0-bluestein_single_back_len546_dim1_sp_op_CI_CI
                                        ; -- End function
	.section	.AMDGPU.csdata,"",@progbits
; Kernel info:
; codeLenInByte = 25312
; NumSgprs: 18
; NumVgprs: 205
; ScratchSize: 0
; MemoryBound: 0
; FloatMode: 240
; IeeeMode: 1
; LDSByteSize: 13104 bytes/workgroup (compile time only)
; SGPRBlocks: 2
; VGPRBlocks: 25
; NumSGPRsForWavesPerEU: 18
; NumVGPRsForWavesPerEU: 205
; Occupancy: 7
; WaveLimiterHint : 1
; COMPUTE_PGM_RSRC2:SCRATCH_EN: 0
; COMPUTE_PGM_RSRC2:USER_SGPR: 2
; COMPUTE_PGM_RSRC2:TRAP_HANDLER: 0
; COMPUTE_PGM_RSRC2:TGID_X_EN: 1
; COMPUTE_PGM_RSRC2:TGID_Y_EN: 0
; COMPUTE_PGM_RSRC2:TGID_Z_EN: 0
; COMPUTE_PGM_RSRC2:TIDIG_COMP_CNT: 0
	.text
	.p2alignl 7, 3214868480
	.fill 96, 4, 3214868480
	.type	__hip_cuid_802e4dd38d42d49,@object ; @__hip_cuid_802e4dd38d42d49
	.section	.bss,"aw",@nobits
	.globl	__hip_cuid_802e4dd38d42d49
__hip_cuid_802e4dd38d42d49:
	.byte	0                               ; 0x0
	.size	__hip_cuid_802e4dd38d42d49, 1

	.ident	"AMD clang version 19.0.0git (https://github.com/RadeonOpenCompute/llvm-project roc-6.4.0 25133 c7fe45cf4b819c5991fe208aaa96edf142730f1d)"
	.section	".note.GNU-stack","",@progbits
	.addrsig
	.addrsig_sym __hip_cuid_802e4dd38d42d49
	.amdgpu_metadata
---
amdhsa.kernels:
  - .args:
      - .actual_access:  read_only
        .address_space:  global
        .offset:         0
        .size:           8
        .value_kind:     global_buffer
      - .actual_access:  read_only
        .address_space:  global
        .offset:         8
        .size:           8
        .value_kind:     global_buffer
      - .actual_access:  read_only
        .address_space:  global
        .offset:         16
        .size:           8
        .value_kind:     global_buffer
      - .actual_access:  read_only
        .address_space:  global
        .offset:         24
        .size:           8
        .value_kind:     global_buffer
      - .actual_access:  read_only
        .address_space:  global
        .offset:         32
        .size:           8
        .value_kind:     global_buffer
      - .offset:         40
        .size:           8
        .value_kind:     by_value
      - .address_space:  global
        .offset:         48
        .size:           8
        .value_kind:     global_buffer
      - .address_space:  global
        .offset:         56
        .size:           8
        .value_kind:     global_buffer
      - .address_space:  global
        .offset:         64
        .size:           8
        .value_kind:     global_buffer
      - .address_space:  global
        .offset:         72
        .size:           8
        .value_kind:     global_buffer
      - .offset:         80
        .size:           4
        .value_kind:     by_value
      - .address_space:  global
        .offset:         88
        .size:           8
        .value_kind:     global_buffer
      - .address_space:  global
        .offset:         96
        .size:           8
        .value_kind:     global_buffer
    .group_segment_fixed_size: 13104
    .kernarg_segment_align: 8
    .kernarg_segment_size: 104
    .language:       OpenCL C
    .language_version:
      - 2
      - 0
    .max_flat_workgroup_size: 117
    .name:           bluestein_single_back_len546_dim1_sp_op_CI_CI
    .private_segment_fixed_size: 0
    .sgpr_count:     18
    .sgpr_spill_count: 0
    .symbol:         bluestein_single_back_len546_dim1_sp_op_CI_CI.kd
    .uniform_work_group_size: 1
    .uses_dynamic_stack: false
    .vgpr_count:     205
    .vgpr_spill_count: 0
    .wavefront_size: 32
    .workgroup_processor_mode: 1
amdhsa.target:   amdgcn-amd-amdhsa--gfx1201
amdhsa.version:
  - 1
  - 2
...

	.end_amdgpu_metadata
